;; amdgpu-corpus repo=ROCm/rocFFT kind=compiled arch=gfx1030 opt=O3
	.text
	.amdgcn_target "amdgcn-amd-amdhsa--gfx1030"
	.amdhsa_code_object_version 6
	.protected	fft_rtc_back_len289_factors_17_17_wgs_119_tpt_17_dp_ip_CI_sbcc_twdbase8_3step_dirReg_intrinsicRead ; -- Begin function fft_rtc_back_len289_factors_17_17_wgs_119_tpt_17_dp_ip_CI_sbcc_twdbase8_3step_dirReg_intrinsicRead
	.globl	fft_rtc_back_len289_factors_17_17_wgs_119_tpt_17_dp_ip_CI_sbcc_twdbase8_3step_dirReg_intrinsicRead
	.p2align	8
	.type	fft_rtc_back_len289_factors_17_17_wgs_119_tpt_17_dp_ip_CI_sbcc_twdbase8_3step_dirReg_intrinsicRead,@function
fft_rtc_back_len289_factors_17_17_wgs_119_tpt_17_dp_ip_CI_sbcc_twdbase8_3step_dirReg_intrinsicRead: ; @fft_rtc_back_len289_factors_17_17_wgs_119_tpt_17_dp_ip_CI_sbcc_twdbase8_3step_dirReg_intrinsicRead
; %bb.0:
	s_load_dwordx4 s[12:15], s[4:5], 0x18
	s_mov_b64 s[66:67], s[2:3]
	s_mov_b64 s[64:65], s[0:1]
	v_mov_b32_e32 v178, v0
	s_add_u32 s64, s64, s7
	s_addc_u32 s65, s65, 0
	s_mov_b64 s[20:21], 0
	s_waitcnt lgkmcnt(0)
	s_load_dwordx2 s[16:17], s[12:13], 0x8
	s_waitcnt lgkmcnt(0)
	s_add_u32 s0, s16, -1
	s_addc_u32 s1, s17, -1
	s_add_u32 s2, 0, 0x92481000
	s_addc_u32 s3, 0, 0x64
	s_mul_hi_u32 s8, s2, -7
	s_add_i32 s3, s3, 0x249248c0
	s_sub_i32 s8, s8, s2
	s_mul_i32 s10, s3, -7
	s_mul_i32 s7, s2, -7
	s_add_i32 s8, s8, s10
	s_mul_hi_u32 s9, s2, s7
	s_mul_i32 s18, s2, s8
	s_mul_hi_u32 s10, s2, s8
	s_mul_hi_u32 s11, s3, s7
	s_mul_i32 s7, s3, s7
	s_add_u32 s9, s9, s18
	s_addc_u32 s10, 0, s10
	s_mul_hi_u32 s19, s3, s8
	s_add_u32 s7, s9, s7
	s_mul_i32 s8, s3, s8
	s_addc_u32 s7, s10, s11
	s_addc_u32 s9, s19, 0
	s_add_u32 s7, s7, s8
	v_add_co_u32 v0, s2, s2, s7
	s_addc_u32 s7, 0, s9
	s_cmp_lg_u32 s2, 0
	s_addc_u32 s2, s3, s7
	v_readfirstlane_b32 s3, v0
	s_mul_i32 s8, s0, s2
	s_mul_hi_u32 s7, s0, s2
	s_mul_hi_u32 s9, s1, s2
	s_mul_i32 s2, s1, s2
	s_mul_hi_u32 s10, s0, s3
	s_mul_hi_u32 s11, s1, s3
	s_mul_i32 s3, s1, s3
	s_add_u32 s8, s10, s8
	s_addc_u32 s7, 0, s7
	s_add_u32 s3, s8, s3
	s_addc_u32 s3, s7, s11
	s_addc_u32 s7, s9, 0
	s_add_u32 s2, s3, s2
	s_addc_u32 s3, 0, s7
	s_mul_i32 s8, s2, 7
	s_add_u32 s7, s2, 1
	v_sub_co_u32 v0, s0, s0, s8
	s_mul_hi_u32 s8, s2, 7
	s_addc_u32 s9, s3, 0
	s_mul_i32 s10, s3, 7
	v_sub_co_u32 v1, s11, v0, 7
	s_add_u32 s18, s2, 2
	s_addc_u32 s19, s3, 0
	s_add_i32 s8, s8, s10
	s_cmp_lg_u32 s0, 0
	v_readfirstlane_b32 s0, v1
	s_subb_u32 s1, s1, s8
	s_cmp_lg_u32 s11, 0
	s_subb_u32 s8, s1, 0
	s_cmp_gt_u32 s0, 6
	s_cselect_b32 s0, -1, 0
	s_cmp_eq_u32 s8, 0
	v_readfirstlane_b32 s8, v0
	s_cselect_b32 s0, s0, -1
	s_cmp_lg_u32 s0, 0
	s_cselect_b32 s0, s18, s7
	s_cselect_b32 s9, s19, s9
	s_cmp_gt_u32 s8, 6
	s_cselect_b32 s7, -1, 0
	s_cmp_eq_u32 s1, 0
	s_cselect_b32 s1, s7, -1
	s_mov_b32 s7, 0
	s_cmp_lg_u32 s1, 0
	s_cselect_b32 s0, s0, s2
	s_cselect_b32 s1, s9, s3
	s_add_u32 s18, s0, 1
	s_addc_u32 s19, s1, 0
	v_cmp_lt_u64_e64 s0, s[6:7], s[18:19]
	s_and_b32 vcc_lo, exec_lo, s0
	s_cbranch_vccnz .LBB0_2
; %bb.1:
	v_cvt_f32_u32_e32 v0, s18
	s_sub_i32 s1, 0, s18
	s_mov_b32 s21, s7
	v_rcp_iflag_f32_e32 v0, v0
	v_mul_f32_e32 v0, 0x4f7ffffe, v0
	v_cvt_u32_f32_e32 v0, v0
	v_readfirstlane_b32 s0, v0
	s_mul_i32 s1, s1, s0
	s_mul_hi_u32 s1, s0, s1
	s_add_i32 s0, s0, s1
	s_mul_hi_u32 s0, s6, s0
	s_mul_i32 s1, s0, s18
	s_add_i32 s2, s0, 1
	s_sub_i32 s1, s6, s1
	s_sub_i32 s3, s1, s18
	s_cmp_ge_u32 s1, s18
	s_cselect_b32 s0, s2, s0
	s_cselect_b32 s1, s3, s1
	s_add_i32 s2, s0, 1
	s_cmp_ge_u32 s1, s18
	s_cselect_b32 s20, s2, s0
.LBB0_2:
	s_load_dwordx4 s[0:3], s[14:15], 0x0
	s_clause 0x2
	s_load_dwordx4 s[8:11], s[4:5], 0x8
	s_load_dwordx2 s[58:59], s[4:5], 0x0
	s_load_dwordx2 s[4:5], s[4:5], 0x58
	s_mul_i32 s22, s20, s19
	s_mul_hi_u32 s23, s20, s18
	s_mul_i32 s24, s20, s18
	s_add_i32 s23, s23, s22
	s_sub_u32 s34, s6, s24
	s_subb_u32 s22, 0, s23
	s_mul_hi_u32 s33, s34, 7
	s_mul_i32 s22, s22, 7
	s_mul_i32 s34, s34, 7
	s_add_i32 s33, s33, s22
	s_waitcnt lgkmcnt(0)
	s_mul_i32 s22, s2, s33
	v_cmp_lt_u64_e64 s24, s[10:11], 3
	s_mul_hi_u32 s23, s2, s34
	s_mul_i32 s36, s2, s34
	s_add_i32 s22, s23, s22
	s_mul_i32 s23, s3, s34
	s_add_i32 s35, s22, s23
	s_and_b32 vcc_lo, exec_lo, s24
	s_cbranch_vccnz .LBB0_12
; %bb.3:
	s_add_u32 s22, s14, 16
	s_addc_u32 s23, s15, 0
	s_add_u32 s12, s12, 16
	s_addc_u32 s13, s13, 0
	s_mov_b64 s[24:25], 2
	s_mov_b32 s26, 0
.LBB0_4:                                ; =>This Inner Loop Header: Depth=1
	s_load_dwordx2 s[28:29], s[12:13], 0x0
	s_waitcnt lgkmcnt(0)
	s_or_b64 s[30:31], s[20:21], s[28:29]
	s_mov_b32 s27, s31
                                        ; implicit-def: $sgpr30_sgpr31
	s_cmp_lg_u64 s[26:27], 0
	s_mov_b32 s27, -1
	s_cbranch_scc0 .LBB0_6
; %bb.5:                                ;   in Loop: Header=BB0_4 Depth=1
	v_cvt_f32_u32_e32 v0, s28
	v_cvt_f32_u32_e32 v1, s29
	s_sub_u32 s31, 0, s28
	s_subb_u32 s37, 0, s29
	v_fmac_f32_e32 v0, 0x4f800000, v1
	v_rcp_f32_e32 v0, v0
	v_mul_f32_e32 v0, 0x5f7ffffc, v0
	v_mul_f32_e32 v1, 0x2f800000, v0
	v_trunc_f32_e32 v1, v1
	v_fmac_f32_e32 v0, 0xcf800000, v1
	v_cvt_u32_f32_e32 v1, v1
	v_cvt_u32_f32_e32 v0, v0
	v_readfirstlane_b32 s27, v1
	v_readfirstlane_b32 s30, v0
	s_mul_i32 s38, s31, s27
	s_mul_hi_u32 s40, s31, s30
	s_mul_i32 s39, s37, s30
	s_add_i32 s38, s40, s38
	s_mul_i32 s41, s31, s30
	s_add_i32 s38, s38, s39
	s_mul_hi_u32 s40, s30, s41
	s_mul_hi_u32 s42, s27, s41
	s_mul_i32 s39, s27, s41
	s_mul_hi_u32 s41, s30, s38
	s_mul_i32 s30, s30, s38
	s_mul_hi_u32 s43, s27, s38
	s_add_u32 s30, s40, s30
	s_addc_u32 s40, 0, s41
	s_add_u32 s30, s30, s39
	s_mul_i32 s38, s27, s38
	s_addc_u32 s30, s40, s42
	s_addc_u32 s39, s43, 0
	s_add_u32 s30, s30, s38
	s_addc_u32 s38, 0, s39
	v_add_co_u32 v0, s30, v0, s30
	s_cmp_lg_u32 s30, 0
	s_addc_u32 s27, s27, s38
	v_readfirstlane_b32 s30, v0
	s_mul_i32 s38, s31, s27
	s_mul_hi_u32 s39, s31, s30
	s_mul_i32 s37, s37, s30
	s_add_i32 s38, s39, s38
	s_mul_i32 s31, s31, s30
	s_add_i32 s38, s38, s37
	s_mul_hi_u32 s39, s27, s31
	s_mul_i32 s40, s27, s31
	s_mul_hi_u32 s31, s30, s31
	s_mul_hi_u32 s41, s30, s38
	s_mul_i32 s30, s30, s38
	s_mul_hi_u32 s37, s27, s38
	s_add_u32 s30, s31, s30
	s_addc_u32 s31, 0, s41
	s_add_u32 s30, s30, s40
	s_mul_i32 s38, s27, s38
	s_addc_u32 s30, s31, s39
	s_addc_u32 s31, s37, 0
	s_add_u32 s30, s30, s38
	s_addc_u32 s31, 0, s31
	v_add_co_u32 v0, s30, v0, s30
	s_cmp_lg_u32 s30, 0
	s_addc_u32 s27, s27, s31
	v_readfirstlane_b32 s30, v0
	s_mul_i32 s37, s20, s27
	s_mul_hi_u32 s31, s20, s27
	s_mul_hi_u32 s38, s21, s27
	s_mul_i32 s27, s21, s27
	s_mul_hi_u32 s39, s20, s30
	s_mul_hi_u32 s40, s21, s30
	s_mul_i32 s30, s21, s30
	s_add_u32 s37, s39, s37
	s_addc_u32 s31, 0, s31
	s_add_u32 s30, s37, s30
	s_addc_u32 s30, s31, s40
	s_addc_u32 s31, s38, 0
	s_add_u32 s30, s30, s27
	s_addc_u32 s31, 0, s31
	s_mul_hi_u32 s27, s28, s30
	s_mul_i32 s38, s28, s31
	s_mul_i32 s39, s28, s30
	s_add_i32 s27, s27, s38
	v_sub_co_u32 v0, s38, s20, s39
	s_mul_i32 s37, s29, s30
	s_add_i32 s27, s27, s37
	v_sub_co_u32 v1, s39, v0, s28
	s_sub_i32 s37, s21, s27
	s_cmp_lg_u32 s38, 0
	s_subb_u32 s37, s37, s29
	s_cmp_lg_u32 s39, 0
	v_readfirstlane_b32 s39, v1
	s_subb_u32 s37, s37, 0
	s_cmp_ge_u32 s37, s29
	s_cselect_b32 s40, -1, 0
	s_cmp_ge_u32 s39, s28
	s_cselect_b32 s39, -1, 0
	s_cmp_eq_u32 s37, s29
	s_cselect_b32 s37, s39, s40
	s_add_u32 s39, s30, 1
	s_addc_u32 s40, s31, 0
	s_add_u32 s41, s30, 2
	s_addc_u32 s42, s31, 0
	s_cmp_lg_u32 s37, 0
	s_cselect_b32 s37, s41, s39
	s_cselect_b32 s39, s42, s40
	s_cmp_lg_u32 s38, 0
	v_readfirstlane_b32 s38, v0
	s_subb_u32 s27, s21, s27
	s_cmp_ge_u32 s27, s29
	s_cselect_b32 s40, -1, 0
	s_cmp_ge_u32 s38, s28
	s_cselect_b32 s38, -1, 0
	s_cmp_eq_u32 s27, s29
	s_cselect_b32 s27, s38, s40
	s_cmp_lg_u32 s27, 0
	s_mov_b32 s27, 0
	s_cselect_b32 s31, s39, s31
	s_cselect_b32 s30, s37, s30
.LBB0_6:                                ;   in Loop: Header=BB0_4 Depth=1
	s_andn2_b32 vcc_lo, exec_lo, s27
	s_cbranch_vccnz .LBB0_8
; %bb.7:                                ;   in Loop: Header=BB0_4 Depth=1
	v_cvt_f32_u32_e32 v0, s28
	s_sub_i32 s30, 0, s28
	v_rcp_iflag_f32_e32 v0, v0
	v_mul_f32_e32 v0, 0x4f7ffffe, v0
	v_cvt_u32_f32_e32 v0, v0
	v_readfirstlane_b32 s27, v0
	s_mul_i32 s30, s30, s27
	s_mul_hi_u32 s30, s27, s30
	s_add_i32 s27, s27, s30
	s_mul_hi_u32 s27, s20, s27
	s_mul_i32 s30, s27, s28
	s_add_i32 s31, s27, 1
	s_sub_i32 s30, s20, s30
	s_sub_i32 s37, s30, s28
	s_cmp_ge_u32 s30, s28
	s_cselect_b32 s27, s31, s27
	s_cselect_b32 s30, s37, s30
	s_add_i32 s31, s27, 1
	s_cmp_ge_u32 s30, s28
	s_cselect_b32 s30, s31, s27
	s_mov_b32 s31, s26
.LBB0_8:                                ;   in Loop: Header=BB0_4 Depth=1
	s_load_dwordx2 s[38:39], s[22:23], 0x0
	s_mul_i32 s19, s28, s19
	s_mul_hi_u32 s27, s28, s18
	s_mul_i32 s37, s29, s18
	s_mul_i32 s29, s30, s29
	s_mul_hi_u32 s40, s30, s28
	s_mul_i32 s41, s31, s28
	s_add_i32 s19, s27, s19
	s_add_i32 s27, s40, s29
	s_mul_i32 s42, s30, s28
	s_add_i32 s19, s19, s37
	s_add_i32 s27, s27, s41
	s_sub_u32 s20, s20, s42
	s_subb_u32 s21, s21, s27
	s_mul_i32 s18, s28, s18
	s_waitcnt lgkmcnt(0)
	s_mul_i32 s21, s38, s21
	s_mul_hi_u32 s27, s38, s20
	s_add_i32 s21, s27, s21
	s_mul_i32 s27, s39, s20
	s_mul_i32 s20, s38, s20
	s_add_i32 s21, s21, s27
	s_add_u32 s36, s20, s36
	s_addc_u32 s35, s21, s35
	s_add_u32 s24, s24, 1
	s_addc_u32 s25, s25, 0
	s_add_u32 s22, s22, 8
	v_cmp_ge_u64_e64 s20, s[24:25], s[10:11]
	s_addc_u32 s23, s23, 0
	s_add_u32 s12, s12, 8
	s_addc_u32 s13, s13, 0
	s_and_b32 vcc_lo, exec_lo, s20
	s_cbranch_vccnz .LBB0_10
; %bb.9:                                ;   in Loop: Header=BB0_4 Depth=1
	s_mov_b64 s[20:21], s[30:31]
	s_branch .LBB0_4
.LBB0_10:
	v_cmp_lt_u64_e64 s7, s[6:7], s[18:19]
	s_mov_b64 s[20:21], 0
	s_and_b32 vcc_lo, exec_lo, s7
	s_cbranch_vccnz .LBB0_12
; %bb.11:
	v_cvt_f32_u32_e32 v0, s18
	s_sub_i32 s12, 0, s18
	v_rcp_iflag_f32_e32 v0, v0
	v_mul_f32_e32 v0, 0x4f7ffffe, v0
	v_cvt_u32_f32_e32 v0, v0
	v_readfirstlane_b32 s7, v0
	s_mul_i32 s12, s12, s7
	s_mul_hi_u32 s12, s7, s12
	s_add_i32 s7, s7, s12
	s_mul_hi_u32 s7, s6, s7
	s_mul_i32 s12, s7, s18
	s_sub_i32 s6, s6, s12
	s_add_i32 s12, s7, 1
	s_sub_i32 s13, s6, s18
	s_cmp_ge_u32 s6, s18
	s_cselect_b32 s7, s12, s7
	s_cselect_b32 s6, s13, s6
	s_add_i32 s12, s7, 1
	s_cmp_ge_u32 s6, s18
	s_cselect_b32 s20, s12, s7
.LBB0_12:
	s_lshl_b64 s[6:7], s[10:11], 3
	v_mul_u32_u24_e32 v0, 0x2493, v178
	s_add_u32 s6, s14, s6
	s_addc_u32 s7, s15, s7
	s_mov_b32 s44, 0x5d8e7cdc
	s_load_dwordx2 s[6:7], s[6:7], 0x0
	v_lshrrev_b32_e32 v182, 16, v0
	s_mov_b32 s50, 0x2a9d6da3
	s_mov_b32 s52, 0x7c9e640b
	s_mov_b32 s46, 0xeb564b22
	s_mov_b32 s26, 0x923c349f
	v_mul_lo_u16 v0, v182, 7
	v_add_nc_u32_e32 v1, 17, v182
	v_mul_lo_u32 v2, s0, v182
	v_add_nc_u32_e32 v6, 34, v182
	v_add_nc_u32_e32 v7, 0x88, v182
	v_sub_nc_u16 v0, v178, v0
	v_mul_lo_u32 v1, s0, v1
	v_add_nc_u32_e32 v8, 0x99, v182
	v_add_nc_u32_e32 v10, 0xaa, v182
	v_mul_lo_u32 v7, s0, v7
	v_and_b32_e32 v179, 0xffff, v0
	v_add_nc_u32_e32 v11, 0xbb, v182
	v_mul_lo_u32 v8, s0, v8
	v_add_nc_u32_e32 v12, 0xdd, v182
	s_waitcnt lgkmcnt(0)
	s_mul_i32 s7, s7, s20
	s_mul_hi_u32 s10, s6, s20
	s_mul_i32 s6, s6, s20
	v_add_co_u32 v91, s11, s34, v179
	v_mad_u64_u32 v[249:250], null, s2, v179, 0
	s_add_i32 s2, s10, s7
	v_add_co_ci_u32_e64 v92, null, s33, 0, s11
	s_add_u32 s10, s6, s36
	s_addc_u32 s11, s2, s35
	s_add_u32 s6, s34, 7
	s_addc_u32 s7, s33, 0
	v_cmp_gt_u64_e32 vcc_lo, s[16:17], v[91:92]
	v_cmp_le_u64_e64 s2, s[6:7], s[16:17]
	v_add_lshl_u32 v0, v249, v2, 4
	v_add_lshl_u32 v1, v249, v1, 4
	s_mov_b32 s7, 0x31014000
	s_mov_b32 s6, -2
	v_add_lshl_u32 v7, v249, v7, 4
	s_or_b32 vcc_lo, s2, vcc_lo
	s_lshl_b32 s2, s10, 4
	v_cndmask_b32_e32 v0, -1, v0, vcc_lo
	v_cndmask_b32_e32 v5, -1, v1, vcc_lo
	s_clause 0x1
	buffer_load_dwordx4 v[1:4], v0, s[4:7], s2 offen
	buffer_load_dwordx4 v[13:16], v5, s[4:7], s2 offen
	v_mul_lo_u32 v0, s0, v6
	v_add_nc_u32_e32 v5, 51, v182
	v_add_lshl_u32 v8, v249, v8, 4
	v_cndmask_b32_e32 v7, -1, v7, vcc_lo
	v_add_nc_u32_e32 v6, 0x77, v182
	v_add_nc_u32_e32 v29, 0xee, v182
	;; [unrolled: 1-line block ×3, first 2 shown]
	v_cndmask_b32_e32 v8, -1, v8, vcc_lo
	v_add_lshl_u32 v0, v249, v0, 4
	v_mul_lo_u32 v6, s0, v6
	v_add_nc_u32_e32 v30, 0xff, v182
	s_mov_b32 s16, 0x2b2883cd
	s_mov_b32 s20, 0x3259b75e
	v_cndmask_b32_e32 v0, -1, v0, vcc_lo
	s_mov_b32 s28, 0x6c9a05f6
	s_mov_b32 s30, 0x4363dd80
	;; [unrolled: 1-line block ×3, first 2 shown]
	v_add_lshl_u32 v6, v249, v6, 4
	buffer_load_dwordx4 v[17:20], v0, s[4:7], s2 offen
	v_mul_lo_u32 v0, s0, v5
	v_add_nc_u32_e32 v5, 0x44, v182
	s_mov_b32 s22, 0xc61f0d01
	v_cndmask_b32_e32 v6, -1, v6, vcc_lo
	s_mov_b32 s45, 0xbfd71e95
	s_mov_b32 s51, 0xbfe58eea
	;; [unrolled: 1-line block ×4, first 2 shown]
	v_add_lshl_u32 v0, v249, v0, 4
	s_mov_b32 s47, 0xbfefdd0d
	s_mov_b32 s21, 0x3fb79ee6
	;; [unrolled: 1-line block ×4, first 2 shown]
	v_cndmask_b32_e32 v0, -1, v0, vcc_lo
	s_mov_b32 s31, 0xbfe0d888
	s_mov_b32 s35, 0xbfc7851a
	;; [unrolled: 1-line block ×4, first 2 shown]
	buffer_load_dwordx4 v[21:24], v0, s[4:7], s2 offen
	v_mul_lo_u32 v0, s0, v5
	v_add_nc_u32_e32 v5, 0x55, v182
	s_mov_b32 s18, 0x6ed5f1bb
	s_mov_b32 s14, 0x910ea3b9
	;; [unrolled: 1-line block ×6, first 2 shown]
	v_add_lshl_u32 v0, v249, v0, 4
	s_mov_b32 s13, 0xbfef7484
	s_mov_b32 s43, 0x3fd71e95
	;; [unrolled: 1-line block ×4, first 2 shown]
	v_cndmask_b32_e32 v0, -1, v0, vcc_lo
	s_mov_b32 s55, 0x3feec746
	s_mov_b32 s57, 0x3fe0d888
	;; [unrolled: 1-line block ×4, first 2 shown]
	buffer_load_dwordx4 v[25:28], v0, s[4:7], s2 offen
	v_mul_lo_u32 v0, s0, v5
	v_add_nc_u32_e32 v5, 0x66, v182
	s_mov_b32 s36, s46
	s_mov_b32 s54, s26
	;; [unrolled: 1-line block ×4, first 2 shown]
	v_mul_lo_u32 v5, s0, v5
	s_mov_b32 s49, 0x3fe9895b
	v_add_lshl_u32 v9, v249, v0, 4
	v_add_nc_u32_e32 v0, 0xcc, v182
	s_mov_b32 s61, 0x3fc7851a
	s_mov_b32 s40, s50
	;; [unrolled: 1-line block ×3, first 2 shown]
	v_cndmask_b32_e32 v9, -1, v9, vcc_lo
	v_add_lshl_u32 v5, v249, v5, 4
	v_mul_lo_u32 v0, s0, v0
	s_mov_b32 s60, s34
	buffer_load_dwordx4 v[77:80], v9, s[4:7], s2 offen
	v_cndmask_b32_e32 v5, -1, v5, vcc_lo
	s_clause 0x2
	buffer_load_dwordx4 v[65:68], v5, s[4:7], s2 offen
	buffer_load_dwordx4 v[83:86], v7, s[4:7], s2 offen
	;; [unrolled: 1-line block ×3, first 2 shown]
	v_mul_lo_u32 v9, s0, v10
	v_mul_lo_u32 v10, s0, v11
	;; [unrolled: 1-line block ×5, first 2 shown]
	v_add_lshl_u32 v0, v249, v0, 4
	v_add_lshl_u32 v9, v249, v9, 4
	;; [unrolled: 1-line block ×3, first 2 shown]
	v_cndmask_b32_e32 v0, -1, v0, vcc_lo
	v_add_lshl_u32 v5, v249, v29, 4
	v_cndmask_b32_e32 v9, -1, v9, vcc_lo
	s_clause 0x1
	buffer_load_dwordx4 v[87:90], v6, s[4:7], s2 offen
	buffer_load_dwordx4 v[183:186], v9, s[4:7], s2 offen
	v_mul_lo_u32 v9, s0, v30
	v_cndmask_b32_e32 v7, -1, v10, vcc_lo
	v_add_lshl_u32 v6, v249, v11, 4
	v_cndmask_b32_e32 v5, -1, v5, vcc_lo
	buffer_load_dwordx4 v[41:44], v7, s[4:7], s2 offen
	v_cndmask_b32_e32 v10, -1, v6, vcc_lo
	s_clause 0x1
	buffer_load_dwordx4 v[5:8], v5, s[4:7], s2 offen
	buffer_load_dwordx4 v[37:40], v0, s[4:7], s2 offen
	v_add_lshl_u32 v0, v249, v12, 4
	v_add_lshl_u32 v9, v249, v9, 4
	buffer_load_dwordx4 v[33:36], v10, s[4:7], s2 offen
	v_cndmask_b32_e32 v0, -1, v0, vcc_lo
	v_cndmask_b32_e32 v9, -1, v9, vcc_lo
	s_clause 0x1
	buffer_load_dwordx4 v[29:32], v0, s[4:7], s2 offen
	buffer_load_dwordx4 v[9:12], v9, s[4:7], s2 offen
	s_mov_b32 s6, 0x370991
	s_mov_b32 s7, 0x3fedd6d0
	v_mul_u32_u24_e32 v0, 0x770, v182
	s_waitcnt vmcnt(15)
	v_add_f64 v[45:46], v[1:2], v[13:14]
	v_add_f64 v[47:48], v[3:4], v[15:16]
	s_waitcnt vmcnt(14)
	v_add_f64 v[45:46], v[45:46], v[17:18]
	v_add_f64 v[47:48], v[47:48], v[19:20]
	;; [unrolled: 3-line block ×4, first 2 shown]
	s_waitcnt vmcnt(8)
	v_add_f64 v[53:54], v[85:86], v[94:95]
	v_add_f64 v[55:56], v[85:86], -v[94:95]
	v_add_f64 v[45:46], v[45:46], v[77:78]
	v_add_f64 v[47:48], v[47:48], v[79:80]
	s_waitcnt vmcnt(6)
	v_add_f64 v[49:50], v[87:88], v[183:184]
	v_add_f64 v[51:52], v[87:88], -v[183:184]
	v_add_f64 v[61:62], v[89:90], v[185:186]
	v_add_f64 v[63:64], v[89:90], -v[185:186]
	v_mul_f64 v[102:103], v[55:56], s[42:43]
	s_waitcnt vmcnt(5)
	v_add_f64 v[69:70], v[67:68], v[43:44]
	s_waitcnt vmcnt(4)
	v_add_f64 v[98:99], v[15:16], -v[7:8]
	v_add_f64 v[100:101], v[15:16], v[7:8]
	v_add_f64 v[81:82], v[45:46], v[65:66]
	v_add_f64 v[96:97], v[47:48], v[67:68]
	v_add_f64 v[71:72], v[67:68], -v[43:44]
	v_add_f64 v[136:137], v[13:14], v[5:6]
	v_add_f64 v[134:135], v[13:14], -v[5:6]
	v_add_f64 v[57:58], v[65:66], v[41:42]
	v_add_f64 v[59:60], v[65:66], -v[41:42]
	s_waitcnt vmcnt(3)
	v_add_f64 v[65:66], v[77:78], v[37:38]
	v_add_f64 v[75:76], v[79:80], v[39:40]
	v_add_f64 v[67:68], v[77:78], -v[37:38]
	s_waitcnt vmcnt(0)
	v_add_f64 v[168:169], v[19:20], v[11:12]
	v_add_f64 v[77:78], v[79:80], -v[39:40]
	v_add_f64 v[112:113], v[17:18], v[9:10]
	v_add_f64 v[114:115], v[17:18], -v[9:10]
	;; [unrolled: 2-line block ×5, first 2 shown]
	v_mul_f64 v[174:175], v[98:99], s[44:45]
	v_mul_f64 v[172:173], v[98:99], s[50:51]
	v_add_f64 v[87:88], v[81:82], v[87:88]
	v_add_f64 v[96:97], v[96:97], v[89:90]
	v_add_f64 v[89:90], v[19:20], -v[11:12]
	v_mul_f64 v[170:171], v[98:99], s[52:53]
	v_mul_f64 v[166:167], v[98:99], s[46:47]
	;; [unrolled: 1-line block ×10, first 2 shown]
	v_add_f64 v[81:82], v[23:24], v[31:32]
	v_add_f64 v[23:24], v[23:24], -v[31:32]
	v_mul_f64 v[154:155], v[100:101], s[24:25]
	v_mul_f64 v[146:147], v[100:101], s[18:19]
	;; [unrolled: 1-line block ×7, first 2 shown]
	v_add_f64 v[19:20], v[87:88], v[83:84]
	v_add_f64 v[87:88], v[96:97], v[85:86]
	v_mul_f64 v[176:177], v[89:90], s[50:51]
	v_mul_f64 v[189:190], v[89:90], s[46:47]
	;; [unrolled: 1-line block ×5, first 2 shown]
	v_fma_f64 v[211:212], v[136:137], s[6:7], v[174:175]
	v_fma_f64 v[174:175], v[136:137], s[6:7], -v[174:175]
	v_fma_f64 v[213:214], v[136:137], s[24:25], v[172:173]
	v_fma_f64 v[172:173], v[136:137], s[24:25], -v[172:173]
	;; [unrolled: 2-line block ×5, first 2 shown]
	v_fma_f64 v[221:222], v[136:137], s[12:13], v[156:157]
	v_fma_f64 v[225:226], v[134:135], s[38:39], v[152:153]
	;; [unrolled: 1-line block ×5, first 2 shown]
	v_add_f64 v[132:133], v[19:20], v[92:93]
	v_add_f64 v[187:188], v[87:88], v[94:95]
	v_fma_f64 v[148:149], v[134:135], s[26:27], v[148:149]
	v_mul_f64 v[120:121], v[23:24], s[52:53]
	v_mul_f64 v[122:123], v[81:82], s[16:17]
	;; [unrolled: 1-line block ×5, first 2 shown]
	v_fma_f64 v[223:224], v[134:135], s[40:41], v[154:155]
	v_fma_f64 v[154:155], v[134:135], s[50:51], v[154:155]
	;; [unrolled: 1-line block ×7, first 2 shown]
	v_fma_f64 v[189:190], v[112:113], s[20:21], -v[189:190]
	v_fma_f64 v[239:240], v[112:113], s[18:19], v[193:194]
	v_fma_f64 v[241:242], v[114:115], s[48:49], v[195:196]
	;; [unrolled: 1-line block ×5, first 2 shown]
	v_add_f64 v[211:212], v[1:2], v[211:212]
	v_add_f64 v[183:184], v[132:133], v[183:184]
	;; [unrolled: 1-line block ×3, first 2 shown]
	v_mul_f64 v[187:188], v[89:90], s[34:35]
	v_add_f64 v[174:175], v[1:2], v[174:175]
	v_add_f64 v[172:173], v[1:2], v[172:173]
	v_add_f64 v[215:216], v[1:2], v[215:216]
	v_add_f64 v[225:226], v[3:4], v[225:226]
	v_add_f64 v[166:167], v[1:2], v[166:167]
	v_add_f64 v[150:151], v[3:4], v[150:151]
	v_add_f64 v[164:165], v[1:2], v[164:165]
	v_add_f64 v[148:149], v[3:4], v[148:149]
	v_mul_f64 v[191:192], v[168:169], s[20:21]
	v_mul_f64 v[138:139], v[23:24], s[60:61]
	;; [unrolled: 1-line block ×3, first 2 shown]
	v_fma_f64 v[193:194], v[112:113], s[18:19], -v[193:194]
	v_fma_f64 v[195:196], v[114:115], s[28:29], v[195:196]
	v_add_f64 v[223:224], v[3:4], v[223:224]
	v_add_f64 v[154:155], v[3:4], v[154:155]
	;; [unrolled: 1-line block ×8, first 2 shown]
	v_fma_f64 v[183:184], v[136:137], s[18:19], v[162:163]
	v_fma_f64 v[162:163], v[136:137], s[18:19], -v[162:163]
	v_fma_f64 v[185:186], v[136:137], s[14:15], v[160:161]
	v_fma_f64 v[160:161], v[136:137], s[14:15], -v[160:161]
	v_fma_f64 v[136:137], v[136:137], s[12:13], -v[156:157]
	v_fma_f64 v[156:157], v[134:135], s[42:43], v[158:159]
	v_fma_f64 v[158:159], v[134:135], s[44:45], v[158:159]
	;; [unrolled: 1-line block ×3, first 2 shown]
	v_fma_f64 v[187:188], v[112:113], s[12:13], -v[187:188]
	v_add_f64 v[219:220], v[1:2], v[219:220]
	v_add_f64 v[229:230], v[3:4], v[229:230]
	v_add_f64 v[231:232], v[3:4], v[231:232]
	v_add_f64 v[146:147], v[3:4], v[146:147]
	v_add_f64 v[233:234], v[3:4], v[233:234]
	v_add_f64 v[172:173], v[189:190], v[172:173]
	v_add_f64 v[215:216], v[239:240], v[215:216]
	v_mul_f64 v[239:240], v[23:24], s[54:55]
	v_add_f64 v[225:226], v[241:242], v[225:226]
	v_mul_f64 v[241:242], v[81:82], s[22:23]
	v_add_f64 v[150:151], v[197:198], v[150:151]
	v_add_f64 v[37:38], v[41:42], v[37:38]
	;; [unrolled: 1-line block ×3, first 2 shown]
	v_fma_f64 v[41:42], v[134:135], s[30:31], v[142:143]
	v_fma_f64 v[43:44], v[134:135], s[60:61], v[140:141]
	;; [unrolled: 1-line block ×5, first 2 shown]
	v_fma_f64 v[176:177], v[112:113], s[24:25], -v[176:177]
	v_fma_f64 v[180:181], v[114:115], s[50:51], v[180:181]
	v_add_f64 v[156:157], v[3:4], v[156:157]
	v_add_f64 v[158:159], v[3:4], v[158:159]
	;; [unrolled: 1-line block ×4, first 2 shown]
	v_fma_f64 v[187:188], v[15:16], s[16:17], v[120:121]
	v_fma_f64 v[197:198], v[21:22], s[38:39], v[122:123]
	v_fma_f64 v[120:121], v[15:16], s[16:17], -v[120:121]
	v_fma_f64 v[122:123], v[21:22], s[52:53], v[122:123]
	v_mul_f64 v[108:109], v[27:28], s[46:47]
	v_mul_f64 v[110:111], v[79:80], s[20:21]
	v_mul_f64 v[130:131], v[81:82], s[18:19]
	v_mul_f64 v[124:125], v[27:28], s[34:35]
	v_fma_f64 v[237:238], v[114:115], s[36:37], v[191:192]
	v_add_f64 v[33:34], v[37:38], v[33:34]
	v_add_f64 v[35:36], v[39:40], v[35:36]
	v_fma_f64 v[39:40], v[112:113], s[14:15], -v[199:200]
	v_fma_f64 v[199:200], v[114:115], s[56:57], v[201:202]
	v_fma_f64 v[37:38], v[114:115], s[30:31], v[201:202]
	v_fma_f64 v[201:202], v[112:113], s[22:23], v[203:204]
	v_add_f64 v[41:42], v[3:4], v[41:42]
	v_add_f64 v[43:44], v[3:4], v[43:44]
	;; [unrolled: 1-line block ×3, first 2 shown]
	v_fma_f64 v[3:4], v[112:113], s[22:23], -v[203:204]
	v_fma_f64 v[203:204], v[114:115], s[54:55], v[205:206]
	v_add_f64 v[140:141], v[140:141], v[211:212]
	v_add_f64 v[142:143], v[142:143], v[156:157]
	;; [unrolled: 1-line block ×4, first 2 shown]
	v_fma_f64 v[191:192], v[114:115], s[46:47], v[191:192]
	v_add_f64 v[213:214], v[1:2], v[213:214]
	v_add_f64 v[183:184], v[1:2], v[183:184]
	;; [unrolled: 1-line block ×6, first 2 shown]
	v_fma_f64 v[1:2], v[114:115], s[26:27], v[205:206]
	v_add_f64 v[170:171], v[193:194], v[170:171]
	v_add_f64 v[39:40], v[39:40], v[164:165]
	v_fma_f64 v[164:165], v[15:16], s[18:19], v[128:129]
	v_add_f64 v[148:149], v[199:200], v[148:149]
	v_mul_f64 v[199:200], v[23:24], s[40:41]
	v_fma_f64 v[128:129], v[15:16], s[18:19], -v[128:129]
	v_add_f64 v[152:153], v[195:196], v[152:153]
	v_add_f64 v[217:218], v[243:244], v[217:218]
	;; [unrolled: 1-line block ×5, first 2 shown]
	v_fma_f64 v[3:4], v[15:16], s[12:13], v[138:139]
	v_add_f64 v[146:147], v[203:204], v[146:147]
	v_mul_f64 v[203:204], v[23:24], s[44:45]
	v_add_f64 v[140:141], v[187:188], v[140:141]
	v_fma_f64 v[187:188], v[21:22], s[34:35], v[144:145]
	v_add_f64 v[142:143], v[197:198], v[142:143]
	v_mul_f64 v[197:198], v[81:82], s[6:7]
	v_fma_f64 v[138:139], v[15:16], s[12:13], -v[138:139]
	v_fma_f64 v[144:145], v[21:22], s[60:61], v[144:145]
	v_add_f64 v[120:121], v[120:121], v[174:175]
	v_fma_f64 v[174:175], v[15:16], s[22:23], v[239:240]
	v_add_f64 v[122:123], v[122:123], v[158:159]
	v_fma_f64 v[158:159], v[21:22], s[26:27], v[241:242]
	v_fma_f64 v[239:240], v[15:16], s[22:23], -v[239:240]
	v_mul_f64 v[132:133], v[27:28], s[54:55]
	v_mul_f64 v[207:208], v[89:90], s[38:39]
	v_add_f64 v[128:129], v[128:129], v[172:173]
	v_fma_f64 v[172:173], v[15:16], s[24:25], v[199:200]
	v_mul_f64 v[209:210], v[168:169], s[16:17]
	v_mul_f64 v[89:90], v[89:90], s[42:43]
	;; [unrolled: 1-line block ×3, first 2 shown]
	v_add_f64 v[154:155], v[191:192], v[154:155]
	v_mul_f64 v[193:194], v[27:28], s[42:43]
	v_mul_f64 v[195:196], v[79:80], s[6:7]
	v_add_f64 v[183:184], v[201:202], v[183:184]
	v_fma_f64 v[201:202], v[21:22], s[48:49], v[130:131]
	v_add_f64 v[1:2], v[1:2], v[231:232]
	v_mul_f64 v[231:232], v[81:82], s[24:25]
	v_fma_f64 v[130:131], v[21:22], s[28:29], v[130:131]
	v_add_f64 v[138:139], v[138:139], v[170:171]
	v_fma_f64 v[170:171], v[15:16], s[6:7], v[203:204]
	v_add_f64 v[144:145], v[144:145], v[152:153]
	;; [unrolled: 2-line block ×5, first 2 shown]
	v_mul_f64 v[239:240], v[27:28], s[52:53]
	v_fma_f64 v[108:109], v[73:74], s[20:21], -v[108:109]
	v_fma_f64 v[110:111], v[25:26], s[46:47], v[110:111]
	v_add_f64 v[172:173], v[172:173], v[219:220]
	v_fma_f64 v[219:220], v[73:74], s[12:13], v[124:125]
	v_fma_f64 v[124:125], v[73:74], s[12:13], -v[124:125]
	v_mul_f64 v[96:97], v[77:78], s[26:27]
	v_mul_f64 v[100:101], v[75:76], s[22:23]
	;; [unrolled: 1-line block ×4, first 2 shown]
	v_fma_f64 v[205:206], v[112:113], s[16:17], v[207:208]
	v_add_f64 v[29:30], v[33:34], v[29:30]
	v_add_f64 v[31:32], v[35:36], v[31:32]
	v_fma_f64 v[33:34], v[114:115], s[52:53], v[209:210]
	v_fma_f64 v[35:36], v[112:113], s[6:7], v[89:90]
	v_fma_f64 v[89:90], v[112:113], s[6:7], -v[89:90]
	v_fma_f64 v[112:113], v[112:113], s[16:17], -v[207:208]
	v_fma_f64 v[207:208], v[114:115], s[44:45], v[168:169]
	v_fma_f64 v[168:169], v[114:115], s[42:43], v[168:169]
	;; [unrolled: 1-line block ×3, first 2 shown]
	v_mul_f64 v[209:210], v[79:80], s[22:23]
	v_add_f64 v[213:214], v[235:236], v[213:214]
	v_add_f64 v[37:38], v[37:38], v[229:230]
	v_fma_f64 v[241:242], v[21:22], s[54:55], v[241:242]
	v_add_f64 v[130:131], v[130:131], v[154:155]
	v_fma_f64 v[154:155], v[21:22], s[50:51], v[231:232]
	v_fma_f64 v[199:200], v[15:16], s[24:25], -v[199:200]
	v_add_f64 v[170:171], v[170:171], v[183:184]
	v_fma_f64 v[183:184], v[73:74], s[22:23], v[132:133]
	v_add_f64 v[1:2], v[152:153], v[1:2]
	v_mul_f64 v[152:153], v[27:28], s[30:31]
	v_fma_f64 v[132:133], v[73:74], s[22:23], -v[132:133]
	v_add_f64 v[108:109], v[108:109], v[120:121]
	v_fma_f64 v[120:121], v[73:74], s[6:7], v[193:194]
	v_add_f64 v[110:111], v[110:111], v[122:123]
	v_fma_f64 v[122:123], v[25:26], s[44:45], v[195:196]
	;; [unrolled: 2-line block ×3, first 2 shown]
	v_mul_f64 v[211:212], v[77:78], s[40:41]
	v_add_f64 v[223:224], v[237:238], v[223:224]
	v_mul_f64 v[243:244], v[77:78], s[52:53]
	v_mul_f64 v[245:246], v[75:76], s[16:17]
	v_add_f64 v[3:4], v[3:4], v[215:216]
	v_add_f64 v[164:165], v[164:165], v[213:214]
	v_fma_f64 v[231:232], v[21:22], s[40:41], v[231:232]
	v_add_f64 v[150:151], v[241:242], v[150:151]
	v_mul_f64 v[241:242], v[79:80], s[16:17]
	v_add_f64 v[37:38], v[154:155], v[37:38]
	v_mul_f64 v[154:155], v[77:78], s[34:35]
	v_add_f64 v[39:40], v[199:200], v[39:40]
	v_fma_f64 v[199:200], v[25:26], s[60:61], v[126:127]
	v_fma_f64 v[126:127], v[25:26], s[34:35], v[126:127]
	v_add_f64 v[140:141], v[217:218], v[140:141]
	v_fma_f64 v[217:218], v[25:26], s[26:27], v[209:210]
	v_add_f64 v[142:143], v[227:228], v[142:143]
	v_mul_f64 v[227:228], v[79:80], s[14:15]
	v_fma_f64 v[209:210], v[25:26], s[54:55], v[209:210]
	v_fma_f64 v[193:194], v[73:74], s[6:7], -v[193:194]
	v_fma_f64 v[195:196], v[25:26], s[42:43], v[195:196]
	v_fma_f64 v[239:240], v[73:74], s[16:17], -v[239:240]
	v_add_f64 v[132:133], v[132:133], v[138:139]
	v_fma_f64 v[138:139], v[73:74], s[14:15], v[152:153]
	v_add_f64 v[120:121], v[120:121], v[174:175]
	v_fma_f64 v[174:175], v[65:66], s[22:23], v[96:97]
	;; [unrolled: 2-line block ×3, first 2 shown]
	v_fma_f64 v[96:97], v[65:66], s[22:23], -v[96:97]
	v_fma_f64 v[100:101], v[67:68], s[26:27], v[100:101]
	v_add_f64 v[128:129], v[128:129], v[172:173]
	v_fma_f64 v[172:173], v[65:66], s[14:15], v[116:117]
	v_fma_f64 v[116:117], v[65:66], s[14:15], -v[116:117]
	v_add_f64 v[47:48], v[83:84], v[92:93]
	v_add_f64 v[45:46], v[83:84], -v[92:93]
	v_mul_f64 v[83:84], v[71:72], s[28:29]
	v_mul_f64 v[85:86], v[69:70], s[18:19]
	;; [unrolled: 1-line block ×5, first 2 shown]
	v_add_f64 v[201:202], v[201:202], v[223:224]
	v_add_f64 v[187:188], v[187:188], v[225:226]
	;; [unrolled: 1-line block ×3, first 2 shown]
	v_mul_f64 v[231:232], v[75:76], s[12:13]
	v_add_f64 v[164:165], v[219:220], v[164:165]
	v_add_f64 v[126:127], v[126:127], v[130:131]
	v_fma_f64 v[130:131], v[25:26], s[38:39], v[241:242]
	v_add_f64 v[3:4], v[183:184], v[3:4]
	v_fma_f64 v[241:242], v[25:26], s[52:53], v[241:242]
	;; [unrolled: 2-line block ×3, first 2 shown]
	v_add_f64 v[166:167], v[193:194], v[166:167]
	v_add_f64 v[150:151], v[195:196], v[150:151]
	;; [unrolled: 1-line block ×4, first 2 shown]
	v_fma_f64 v[170:171], v[65:66], s[24:25], v[211:212]
	v_add_f64 v[96:97], v[96:97], v[108:109]
	v_fma_f64 v[108:109], v[65:66], s[16:17], v[243:244]
	v_add_f64 v[100:101], v[100:101], v[110:111]
	v_fma_f64 v[110:111], v[67:68], s[38:39], v[245:246]
	v_fma_f64 v[243:244], v[65:66], s[16:17], -v[243:244]
	v_fma_f64 v[245:246], v[67:68], s[52:53], v[245:246]
	v_add_f64 v[116:117], v[116:117], v[124:125]
	v_fma_f64 v[124:125], v[65:66], s[12:13], v[154:155]
	v_fma_f64 v[154:155], v[65:66], s[12:13], -v[154:155]
	v_mul_f64 v[106:107], v[69:70], s[22:23]
	v_mul_f64 v[176:177], v[71:72], s[44:45]
	;; [unrolled: 1-line block ×4, first 2 shown]
	v_add_f64 v[199:200], v[199:200], v[201:202]
	v_add_f64 v[187:188], v[217:218], v[187:188]
	;; [unrolled: 1-line block ×3, first 2 shown]
	v_fma_f64 v[130:131], v[67:68], s[30:31], v[118:119]
	v_mul_f64 v[239:240], v[77:78], s[36:37]
	v_add_f64 v[148:149], v[241:242], v[148:149]
	v_add_f64 v[1:2], v[209:210], v[1:2]
	v_fma_f64 v[209:210], v[67:68], s[50:51], v[156:157]
	v_add_f64 v[140:141], v[174:175], v[140:141]
	v_add_f64 v[142:143], v[158:159], v[142:143]
	v_fma_f64 v[211:212], v[65:66], s[24:25], -v[211:212]
	v_add_f64 v[164:165], v[172:173], v[164:165]
	v_add_f64 v[3:4], v[170:171], v[3:4]
	v_fma_f64 v[170:171], v[67:68], s[60:61], v[231:232]
	v_fma_f64 v[231:232], v[67:68], s[34:35], v[231:232]
	v_add_f64 v[166:167], v[243:244], v[166:167]
	v_fma_f64 v[243:244], v[57:58], s[18:19], v[83:84]
	v_add_f64 v[150:151], v[245:246], v[150:151]
	;; [unrolled: 2-line block ×3, first 2 shown]
	v_fma_f64 v[154:155], v[57:58], s[22:23], v[104:105]
	v_mul_f64 v[13:14], v[63:64], s[30:31]
	v_mul_f64 v[92:93], v[63:64], s[38:39]
	;; [unrolled: 1-line block ×5, first 2 shown]
	v_fma_f64 v[118:119], v[67:68], s[56:57], v[118:119]
	v_mul_f64 v[174:175], v[71:72], s[50:51]
	v_fma_f64 v[156:157], v[67:68], s[40:41], v[156:157]
	v_add_f64 v[130:131], v[130:131], v[199:200]
	v_add_f64 v[187:188], v[209:210], v[187:188]
	;; [unrolled: 1-line block ×4, first 2 shown]
	v_fma_f64 v[211:212], v[65:66], s[20:21], v[239:240]
	v_fma_f64 v[83:84], v[57:58], s[18:19], -v[83:84]
	v_fma_f64 v[85:86], v[59:60], s[28:29], v[85:86]
	v_add_f64 v[148:149], v[231:232], v[148:149]
	v_fma_f64 v[231:232], v[59:60], s[26:27], v[106:107]
	v_fma_f64 v[104:105], v[57:58], s[22:23], -v[104:105]
	v_add_f64 v[140:141], v[243:244], v[140:141]
	v_fma_f64 v[243:244], v[57:58], s[6:7], v[176:177]
	v_add_f64 v[142:143], v[245:246], v[142:143]
	v_fma_f64 v[245:246], v[59:60], s[42:43], v[180:181]
	;; [unrolled: 2-line block ×3, first 2 shown]
	v_mul_f64 v[235:236], v[63:64], s[46:47]
	v_mul_f64 v[229:230], v[69:70], s[14:15]
	v_fma_f64 v[176:177], v[57:58], s[6:7], -v[176:177]
	v_mul_f64 v[17:18], v[61:62], s[14:15]
	v_mul_f64 v[19:20], v[55:56], s[34:35]
	;; [unrolled: 1-line block ×7, first 2 shown]
	v_add_f64 v[118:119], v[118:119], v[126:127]
	v_add_f64 v[144:145], v[156:157], v[144:145]
	;; [unrolled: 1-line block ×3, first 2 shown]
	v_fma_f64 v[128:129], v[49:50], s[14:15], v[13:14]
	v_add_f64 v[37:38], v[170:171], v[37:38]
	v_add_f64 v[138:139], v[211:212], v[138:139]
	v_fma_f64 v[106:107], v[59:60], s[54:55], v[106:107]
	v_fma_f64 v[13:14], v[49:50], s[14:15], -v[13:14]
	v_add_f64 v[83:84], v[83:84], v[96:97]
	v_fma_f64 v[96:97], v[49:50], s[16:17], v[92:93]
	v_add_f64 v[85:86], v[85:86], v[100:101]
	v_fma_f64 v[100:101], v[51:52], s[52:53], v[94:95]
	v_fma_f64 v[180:181], v[59:60], s[44:45], v[180:181]
	v_add_f64 v[130:131], v[231:232], v[130:131]
	v_add_f64 v[104:105], v[104:105], v[116:117]
	v_fma_f64 v[92:93], v[49:50], s[16:17], -v[92:93]
	v_add_f64 v[3:4], v[243:244], v[3:4]
	v_fma_f64 v[243:244], v[57:58], s[20:21], v[219:220]
	v_add_f64 v[187:188], v[245:246], v[187:188]
	v_fma_f64 v[245:246], v[59:60], s[46:47], v[201:202]
	v_fma_f64 v[219:220], v[57:58], s[20:21], -v[219:220]
	v_add_f64 v[108:109], v[164:165], v[108:109]
	v_fma_f64 v[164:165], v[57:58], s[24:25], v[174:175]
	v_mul_f64 v[189:190], v[55:56], s[30:31]
	v_add_f64 v[110:111], v[110:111], v[122:123]
	v_fma_f64 v[231:232], v[59:60], s[56:57], v[229:230]
	v_add_f64 v[132:133], v[176:177], v[132:133]
	v_fma_f64 v[176:177], v[49:50], s[20:21], v[235:236]
	v_mul_f64 v[87:88], v[53:54], s[12:13]
	v_mul_f64 v[158:159], v[69:70], s[24:25]
	;; [unrolled: 1-line block ×3, first 2 shown]
	v_fma_f64 v[120:121], v[67:68], s[46:47], v[241:242]
	v_mul_f64 v[122:123], v[81:82], s[20:21]
	v_fma_f64 v[170:171], v[51:52], s[56:57], v[17:18]
	v_fma_f64 v[211:212], v[47:48], s[12:13], v[19:20]
	;; [unrolled: 1-line block ×3, first 2 shown]
	v_fma_f64 v[19:20], v[47:48], s[12:13], -v[19:20]
	v_fma_f64 v[116:117], v[47:48], s[6:7], v[102:103]
	v_add_f64 v[106:107], v[106:107], v[118:119]
	v_fma_f64 v[118:119], v[45:46], s[44:45], v[98:99]
	v_fma_f64 v[102:103], v[47:48], s[6:7], -v[102:103]
	v_add_f64 v[144:145], v[180:181], v[144:145]
	v_fma_f64 v[180:181], v[51:52], s[36:37], v[237:238]
	v_fma_f64 v[201:202], v[59:60], s[36:37], v[201:202]
	v_add_f64 v[124:125], v[243:244], v[124:125]
	v_add_f64 v[37:38], v[245:246], v[37:38]
	;; [unrolled: 1-line block ×4, first 2 shown]
	v_fma_f64 v[164:165], v[49:50], s[6:7], v[183:184]
	v_add_f64 v[128:129], v[128:129], v[140:141]
	v_fma_f64 v[140:141], v[51:52], s[42:43], v[217:218]
	v_add_f64 v[13:14], v[13:14], v[83:84]
	v_fma_f64 v[183:184], v[49:50], s[6:7], -v[183:184]
	v_add_f64 v[96:97], v[96:97], v[154:155]
	v_add_f64 v[100:101], v[100:101], v[130:131]
	;; [unrolled: 1-line block ×4, first 2 shown]
	v_mul_f64 v[23:24], v[23:24], s[30:31]
	v_mul_f64 v[81:82], v[81:82], s[14:15]
	v_add_f64 v[110:111], v[231:232], v[110:111]
	v_fma_f64 v[231:232], v[47:48], s[14:15], v[189:190]
	v_add_f64 v[104:105], v[176:177], v[3:4]
	v_add_f64 v[1:2], v[120:121], v[1:2]
	v_fma_f64 v[120:121], v[45:46], s[60:61], v[87:88]
	v_add_f64 v[142:143], v[170:171], v[142:143]
	;; [unrolled: 3-line block ×3, first 2 shown]
	v_add_f64 v[180:181], v[29:30], v[9:10]
	v_add_f64 v[85:86], v[17:18], v[85:86]
	;; [unrolled: 1-line block ×11, first 2 shown]
	v_fma_f64 v[11:12], v[15:16], s[6:7], -v[203:204]
	v_fma_f64 v[37:38], v[21:22], s[44:45], v[197:198]
	v_add_f64 v[39:40], v[205:206], v[185:186]
	v_fma_f64 v[92:93], v[15:16], s[20:21], v[156:157]
	v_fma_f64 v[96:97], v[21:22], s[36:37], v[122:123]
	v_mul_f64 v[100:101], v[27:28], s[48:49]
	v_mul_f64 v[102:103], v[79:80], s[18:19]
	v_add_f64 v[29:30], v[231:232], v[104:105]
	v_add_f64 v[35:36], v[35:36], v[221:222]
	;; [unrolled: 1-line block ×3, first 2 shown]
	v_fma_f64 v[104:105], v[15:16], s[14:15], v[23:24]
	v_fma_f64 v[116:117], v[21:22], s[56:57], v[81:82]
	v_mul_f64 v[27:28], v[27:28], s[40:41]
	v_mul_f64 v[79:80], v[79:80], s[24:25]
	v_add_f64 v[89:90], v[89:90], v[136:137]
	v_add_f64 v[118:119], v[168:169], v[134:135]
	v_fma_f64 v[23:24], v[15:16], s[14:15], -v[23:24]
	v_fma_f64 v[81:82], v[21:22], s[30:31], v[81:82]
	v_add_f64 v[112:113], v[112:113], v[160:161]
	v_add_f64 v[41:42], v[114:115], v[41:42]
	v_fma_f64 v[15:16], v[15:16], s[20:21], -v[156:157]
	v_fma_f64 v[21:22], v[21:22], s[46:47], v[122:123]
	v_add_f64 v[187:188], v[201:202], v[1:2]
	v_add_f64 v[1:2], v[211:212], v[128:129]
	;; [unrolled: 1-line block ×5, first 2 shown]
	v_fma_f64 v[114:115], v[73:74], s[14:15], -v[152:153]
	v_fma_f64 v[120:121], v[25:26], s[30:31], v[227:228]
	v_add_f64 v[39:40], v[92:93], v[39:40]
	v_add_f64 v[33:34], v[96:97], v[33:34]
	v_fma_f64 v[92:93], v[73:74], s[18:19], v[100:101]
	v_fma_f64 v[96:97], v[25:26], s[28:29], v[102:103]
	v_mul_f64 v[122:123], v[77:78], s[44:45]
	v_mul_f64 v[128:129], v[75:76], s[6:7]
	v_add_f64 v[35:36], v[104:105], v[35:36]
	v_add_f64 v[43:44], v[116:117], v[43:44]
	v_fma_f64 v[104:105], v[73:74], s[24:25], v[27:28]
	v_fma_f64 v[116:117], v[25:26], s[50:51], v[79:80]
	v_mul_f64 v[77:78], v[77:78], s[28:29]
	v_mul_f64 v[75:76], v[75:76], s[18:19]
	v_add_f64 v[23:24], v[23:24], v[89:90]
	v_add_f64 v[81:82], v[81:82], v[118:119]
	v_fma_f64 v[27:28], v[73:74], s[24:25], -v[27:28]
	v_fma_f64 v[79:80], v[25:26], s[40:41], v[79:80]
	v_add_f64 v[15:16], v[15:16], v[112:113]
	v_add_f64 v[21:22], v[21:22], v[41:42]
	v_fma_f64 v[41:42], v[73:74], s[18:19], -v[100:101]
	v_fma_f64 v[25:26], v[25:26], s[48:49], v[102:103]
	;; [unrolled: 4-line block ×3, first 2 shown]
	v_add_f64 v[39:40], v[92:93], v[39:40]
	v_add_f64 v[33:34], v[96:97], v[33:34]
	v_fma_f64 v[92:93], v[65:66], s[6:7], v[122:123]
	v_fma_f64 v[96:97], v[67:68], s[42:43], v[128:129]
	v_mul_f64 v[100:101], v[71:72], s[34:35]
	v_mul_f64 v[102:103], v[69:70], s[12:13]
	v_add_f64 v[35:36], v[104:105], v[35:36]
	v_add_f64 v[43:44], v[116:117], v[43:44]
	v_fma_f64 v[104:105], v[65:66], s[18:19], v[77:78]
	v_fma_f64 v[112:113], v[67:68], s[48:49], v[75:76]
	v_mul_f64 v[71:72], v[71:72], s[38:39]
	v_mul_f64 v[69:70], v[69:70], s[16:17]
	v_add_f64 v[23:24], v[27:28], v[23:24]
	v_add_f64 v[27:28], v[79:80], v[81:82]
	v_fma_f64 v[77:78], v[65:66], s[18:19], -v[77:78]
	v_fma_f64 v[75:76], v[67:68], s[28:29], v[75:76]
	v_add_f64 v[15:16], v[41:42], v[15:16]
	v_add_f64 v[21:22], v[25:26], v[21:22]
	v_fma_f64 v[25:26], v[65:66], s[6:7], -v[122:123]
	v_fma_f64 v[41:42], v[67:68], s[44:45], v[128:129]
	v_mul_f64 v[213:214], v[63:64], s[48:49]
	v_mul_f64 v[223:224], v[61:62], s[18:19]
	v_fma_f64 v[229:230], v[59:60], s[30:31], v[229:230]
	v_mul_f64 v[172:173], v[63:64], s[34:35]
	v_mul_f64 v[199:200], v[61:62], s[12:13]
	v_add_f64 v[11:12], v[73:74], v[11:12]
	v_add_f64 v[37:38], v[89:90], v[37:38]
	v_fma_f64 v[65:66], v[57:58], s[24:25], -v[174:175]
	v_fma_f64 v[67:68], v[59:60], s[50:51], v[158:159]
	v_add_f64 v[39:40], v[92:93], v[39:40]
	v_add_f64 v[33:34], v[96:97], v[33:34]
	v_fma_f64 v[73:74], v[57:58], s[12:13], v[100:101]
	v_fma_f64 v[79:80], v[59:60], s[60:61], v[102:103]
	v_mul_f64 v[81:82], v[63:64], s[40:41]
	v_mul_f64 v[89:90], v[61:62], s[24:25]
	v_add_f64 v[35:36], v[104:105], v[35:36]
	v_add_f64 v[43:44], v[112:113], v[43:44]
	v_fma_f64 v[92:93], v[57:58], s[16:17], v[71:72]
	v_fma_f64 v[96:97], v[59:60], s[52:53], v[69:70]
	v_mul_f64 v[63:64], v[63:64], s[26:27]
	v_mul_f64 v[61:62], v[61:62], s[22:23]
	v_add_f64 v[23:24], v[77:78], v[23:24]
	v_add_f64 v[27:28], v[75:76], v[27:28]
	v_fma_f64 v[71:72], v[57:58], s[16:17], -v[71:72]
	v_fma_f64 v[69:70], v[59:60], s[38:39], v[69:70]
	v_add_f64 v[15:16], v[25:26], v[15:16]
	v_add_f64 v[21:22], v[41:42], v[21:22]
	v_fma_f64 v[25:26], v[57:58], s[12:13], -v[100:101]
	v_fma_f64 v[41:42], v[59:60], s[34:35], v[102:103]
	v_fma_f64 v[247:248], v[57:58], s[14:15], -v[247:248]
	v_fma_f64 v[94:95], v[51:52], s[38:39], v[94:95]
	v_fma_f64 v[235:236], v[49:50], s[20:21], -v[235:236]
	v_mul_f64 v[191:192], v[53:54], s[14:15]
	v_mul_f64 v[215:216], v[55:56], s[40:41]
	;; [unrolled: 1-line block ×3, first 2 shown]
	v_add_f64 v[150:151], v[229:230], v[150:151]
	v_fma_f64 v[229:230], v[49:50], s[18:19], v[213:214]
	v_fma_f64 v[243:244], v[51:52], s[28:29], v[223:224]
	v_mul_f64 v[193:194], v[55:56], s[28:29]
	v_mul_f64 v[195:196], v[53:54], s[18:19]
	;; [unrolled: 1-line block ×4, first 2 shown]
	v_fma_f64 v[154:155], v[49:50], s[12:13], v[172:173]
	v_fma_f64 v[130:131], v[51:52], s[60:61], v[199:200]
	v_add_f64 v[11:12], v[65:66], v[11:12]
	v_add_f64 v[37:38], v[67:68], v[37:38]
	v_fma_f64 v[57:58], v[49:50], s[12:13], -v[172:173]
	v_fma_f64 v[59:60], v[51:52], s[34:35], v[199:200]
	v_add_f64 v[39:40], v[73:74], v[39:40]
	v_add_f64 v[33:34], v[79:80], v[33:34]
	v_fma_f64 v[65:66], v[49:50], s[24:25], v[81:82]
	v_fma_f64 v[67:68], v[51:52], s[50:51], v[89:90]
	v_mul_f64 v[73:74], v[55:56], s[26:27]
	v_mul_f64 v[75:76], v[53:54], s[22:23]
	v_add_f64 v[35:36], v[92:93], v[35:36]
	v_add_f64 v[43:44], v[96:97], v[43:44]
	v_fma_f64 v[77:78], v[49:50], s[22:23], v[63:64]
	v_fma_f64 v[79:80], v[51:52], s[54:55], v[61:62]
	v_mul_f64 v[55:56], v[55:56], s[36:37]
	v_mul_f64 v[53:54], v[53:54], s[20:21]
	v_add_f64 v[23:24], v[71:72], v[23:24]
	v_add_f64 v[27:28], v[69:70], v[27:28]
	v_fma_f64 v[63:64], v[49:50], s[22:23], -v[63:64]
	v_fma_f64 v[61:62], v[51:52], s[26:27], v[61:62]
	v_add_f64 v[15:16], v[25:26], v[15:16]
	v_add_f64 v[21:22], v[41:42], v[21:22]
	v_fma_f64 v[25:26], v[49:50], s[24:25], -v[81:82]
	v_fma_f64 v[41:42], v[51:52], s[40:41], v[89:90]
	v_fma_f64 v[217:218], v[51:52], s[44:45], v[217:218]
	v_add_f64 v[166:167], v[247:248], v[166:167]
	v_fma_f64 v[237:238], v[51:52], s[46:47], v[237:238]
	v_fma_f64 v[189:190], v[47:48], s[14:15], -v[189:190]
	v_fma_f64 v[213:214], v[49:50], s[18:19], -v[213:214]
	v_fma_f64 v[223:224], v[51:52], s[48:49], v[223:224]
	v_add_f64 v[94:95], v[94:95], v[106:107]
	v_add_f64 v[106:107], v[235:236], v[132:133]
	v_fma_f64 v[247:248], v[45:46], s[56:57], v[191:192]
	v_fma_f64 v[245:246], v[47:48], s[24:25], v[215:216]
	;; [unrolled: 1-line block ×3, first 2 shown]
	v_add_f64 v[108:109], v[229:230], v[108:109]
	v_add_f64 v[110:111], v[243:244], v[110:111]
	v_fma_f64 v[170:171], v[47:48], s[18:19], v[193:194]
	v_fma_f64 v[83:84], v[45:46], s[48:49], v[195:196]
	v_add_f64 v[49:50], v[154:155], v[138:139]
	v_add_f64 v[51:52], v[130:131], v[187:188]
	v_fma_f64 v[69:70], v[47:48], s[16:17], v[126:127]
	v_fma_f64 v[71:72], v[45:46], s[52:53], v[209:210]
	v_add_f64 v[11:12], v[57:58], v[11:12]
	v_add_f64 v[57:58], v[59:60], v[37:38]
	v_fma_f64 v[81:82], v[45:46], s[38:39], v[209:210]
	v_add_f64 v[65:66], v[65:66], v[39:40]
	v_add_f64 v[67:68], v[67:68], v[33:34]
	v_fma_f64 v[89:90], v[47:48], s[22:23], v[73:74]
	v_fma_f64 v[92:93], v[45:46], s[54:55], v[75:76]
	v_fma_f64 v[59:60], v[47:48], s[16:17], -v[126:127]
	v_add_f64 v[35:36], v[77:78], v[35:36]
	v_add_f64 v[77:78], v[79:80], v[43:44]
	v_fma_f64 v[79:80], v[47:48], s[20:21], v[55:56]
	v_fma_f64 v[96:97], v[45:46], s[46:47], v[53:54]
	v_add_f64 v[23:24], v[63:64], v[23:24]
	v_add_f64 v[100:101], v[61:62], v[27:28]
	v_fma_f64 v[62:63], v[47:48], s[20:21], -v[55:56]
	v_fma_f64 v[102:103], v[45:46], s[36:37], v[53:54]
	v_add_f64 v[15:16], v[25:26], v[15:16]
	v_add_f64 v[104:105], v[41:42], v[21:22]
	v_fma_f64 v[73:74], v[47:48], s[22:23], -v[73:74]
	v_fma_f64 v[75:76], v[45:46], s[26:27], v[75:76]
	v_fma_f64 v[193:194], v[47:48], s[18:19], -v[193:194]
	v_fma_f64 v[195:196], v[45:46], s[28:29], v[195:196]
	v_add_f64 v[148:149], v[217:218], v[148:149]
	v_fma_f64 v[215:216], v[47:48], s[24:25], -v[215:216]
	v_add_f64 v[132:133], v[237:238], v[144:145]
	v_add_f64 v[144:145], v[213:214], v[166:167]
	;; [unrolled: 1-line block ×4, first 2 shown]
	v_fma_f64 v[112:113], v[45:46], s[40:41], v[225:226]
	v_fma_f64 v[191:192], v[45:46], s[30:31], v[191:192]
	;; [unrolled: 1-line block ×4, first 2 shown]
	v_add_f64 v[5:6], v[180:181], v[5:6]
	v_add_f64 v[31:32], v[247:248], v[176:177]
	;; [unrolled: 1-line block ×20, first 2 shown]
	v_lshlrev_b32_e32 v41, 4, v179
	v_add_f64 v[33:34], v[215:216], v[144:145]
	v_add_f64 v[35:36], v[112:113], v[106:107]
	v_add_f64 v[23:24], v[191:192], v[132:133]
	v_add_f64 v[15:16], v[98:99], v[94:95]
	v_add_f64 v[11:12], v[87:88], v[85:86]
	v_add3_u32 v0, 0, v0, v41
	ds_write_b128 v0, v[5:8]
	ds_write_b128 v0, v[1:4] offset:112
	ds_write_b128 v0, v[17:20] offset:224
	;; [unrolled: 1-line block ×16, first 2 shown]
	s_waitcnt lgkmcnt(0)
	s_barrier
	buffer_gl0_inv
	s_and_saveexec_b32 s2, vcc_lo
	s_cbranch_execz .LBB0_14
; %bb.13:
	v_mul_lo_u16 v0, v182, 31
	v_mov_b32_e32 v90, 4
	v_lshrrev_b16 v0, 9, v0
	v_mul_lo_u16 v0, v0, 17
	v_sub_nc_u16 v0, v182, v0
	v_and_b32_e32 v103, 0xff, v0
	v_mul_u32_u24_e32 v0, 0x70, v182
	v_lshlrev_b32_e32 v85, 8, v103
	v_add3_u32 v89, 0, v0, v41
	v_mul_lo_u32 v98, v91, v103
	v_add_nc_u32_e32 v0, 0x110, v103
	s_clause 0xd
	global_load_dwordx4 v[25:28], v85, s[58:59] offset:112
	global_load_dwordx4 v[29:32], v85, s[58:59] offset:128
	;; [unrolled: 1-line block ×14, first 2 shown]
	ds_read_b128 v[81:84], v89 offset:15232
	ds_read_b128 v[77:80], v89 offset:17136
	ds_read_b128 v[69:72], v89 offset:13328
	global_load_dwordx4 v[41:44], v85, s[58:59]
	ds_read_b128 v[61:64], v89 offset:11424
	ds_read_b128 v[73:76], v89 offset:19040
	ds_read_b128 v[65:68], v89 offset:20944
	ds_read_b128 v[99:102], v89 offset:9520
	ds_read_b128 v[104:107], v89 offset:7616
	global_load_dwordx4 v[85:88], v85, s[58:59] offset:240
	s_waitcnt vmcnt(15) lgkmcnt(7)
	v_mul_f64 v[94:95], v[83:84], v[27:28]
	v_mul_f64 v[96:97], v[81:82], v[27:28]
	s_waitcnt vmcnt(13) lgkmcnt(5)
	v_mul_f64 v[27:28], v[71:72], v[23:24]
	v_mul_f64 v[23:24], v[69:70], v[23:24]
	;; [unrolled: 3-line block ×3, first 2 shown]
	v_mul_f64 v[92:93], v[79:80], v[31:32]
	v_mul_f64 v[31:32], v[77:78], v[31:32]
	s_waitcnt vmcnt(11)
	v_mul_f64 v[112:113], v[63:64], v[15:16]
	v_fma_f64 v[118:119], v[81:82], v[25:26], v[94:95]
	v_fma_f64 v[136:137], v[83:84], v[25:26], -v[96:97]
	v_mul_f64 v[25:26], v[61:62], v[15:16]
	v_bfe_u32 v15, v98, 8, 8
	v_fma_f64 v[152:153], v[69:70], v[21:22], v[27:28]
	v_lshlrev_b32_sdwa v16, v90, v98 dst_sel:DWORD dst_unused:UNUSED_PAD src0_sel:DWORD src1_sel:BYTE_0
	v_mul_lo_u32 v69, v91, v0
	v_fma_f64 v[154:155], v[71:72], v[21:22], -v[23:24]
	v_lshl_or_b32 v0, v15, 4, 0x1000
	v_fma_f64 v[144:145], v[73:74], v[17:18], v[108:109]
	global_load_dwordx4 v[19:22], v16, s[8:9]
	v_fma_f64 v[146:147], v[75:76], v[17:18], -v[110:111]
	v_fma_f64 v[132:133], v[77:78], v[29:30], v[92:93]
	global_load_dwordx4 v[15:18], v0, s[8:9]
	s_waitcnt vmcnt(12) lgkmcnt(2)
	v_mul_f64 v[77:78], v[67:68], v[11:12]
	v_mul_f64 v[11:12], v[65:66], v[11:12]
	s_waitcnt vmcnt(11) lgkmcnt(1)
	v_mul_f64 v[27:28], v[101:102], v[7:8]
	v_mul_f64 v[7:8], v[99:100], v[7:8]
	ds_read_b128 v[81:84], v89 offset:22848
	v_fma_f64 v[138:139], v[79:80], v[29:30], -v[31:32]
	ds_read_b128 v[29:32], v89 offset:24752
	v_bfe_u32 v0, v69, 8, 8
	v_fma_f64 v[162:163], v[61:62], v[13:14], v[112:113]
	v_add_nc_u32_e32 v61, 0xff, v103
	v_fma_f64 v[164:165], v[63:64], v[13:14], -v[25:26]
	s_waitcnt vmcnt(9) lgkmcnt(2)
	v_mul_f64 v[13:14], v[106:107], v[35:36]
	v_lshl_or_b32 v0, v0, 4, 0x1000
	ds_read_b128 v[23:26], v89 offset:5712
	ds_read_b128 v[70:73], v89 offset:3808
	v_mul_f64 v[35:36], v[104:105], v[35:36]
	v_mul_lo_u32 v61, v91, v61
	v_add_nc_u32_e32 v62, 0xee, v103
	v_mov_b32_e32 v97, v103
	v_mov_b32_e32 v113, v178
	v_mul_lo_u32 v62, v91, v62
	v_fma_f64 v[134:135], v[65:66], v[9:10], v[77:78]
	v_fma_f64 v[156:157], v[67:68], v[9:10], -v[11:12]
	v_lshlrev_b32_sdwa v9, v90, v69 dst_sel:DWORD dst_unused:UNUSED_PAD src0_sel:DWORD src1_sel:BYTE_0
	s_waitcnt lgkmcnt(3)
	v_mul_f64 v[74:75], v[83:84], v[3:4]
	v_mul_f64 v[3:4], v[81:82], v[3:4]
	v_fma_f64 v[174:175], v[99:100], v[5:6], v[27:28]
	v_fma_f64 v[188:189], v[101:102], v[5:6], -v[7:8]
	s_clause 0x1
	global_load_dwordx4 v[5:8], v9, s[8:9]
	global_load_dwordx4 v[9:12], v0, s[8:9]
	s_waitcnt vmcnt(10) lgkmcnt(2)
	v_mul_f64 v[27:28], v[31:32], v[39:40]
	v_mul_f64 v[39:40], v[29:30], v[39:40]
	v_bfe_u32 v0, v61, 8, 8
	s_waitcnt vmcnt(9) lgkmcnt(1)
	v_mul_f64 v[67:68], v[25:26], v[47:48]
	v_mul_f64 v[47:48], v[23:24], v[47:48]
	v_fma_f64 v[182:183], v[104:105], v[33:34], v[13:14]
	v_lshlrev_b32_sdwa v13, v90, v61 dst_sel:DWORD dst_unused:UNUSED_PAD src0_sel:DWORD src1_sel:BYTE_0
	v_lshl_or_b32 v0, v0, 4, 0x1000
	v_fma_f64 v[192:193], v[106:107], v[33:34], -v[35:36]
	ds_read_b128 v[63:66], v89 offset:28560
	v_fma_f64 v[158:159], v[81:82], v[1:2], v[74:75]
	v_fma_f64 v[160:161], v[83:84], v[1:2], -v[3:4]
	ds_read_b128 v[1:4], v89 offset:26656
	v_fma_f64 v[104:105], v[29:30], v[37:38], v[27:28]
	v_fma_f64 v[106:107], v[31:32], v[37:38], -v[39:40]
	s_clause 0x1
	global_load_dwordx4 v[29:32], v13, s[8:9]
	global_load_dwordx4 v[33:36], v0, s[8:9]
	v_bfe_u32 v0, v62, 8, 8
	v_fma_f64 v[190:191], v[25:26], v[45:46], -v[47:48]
	v_lshlrev_b32_sdwa v25, v90, v62 dst_sel:DWORD dst_unused:UNUSED_PAD src0_sel:DWORD src1_sel:BYTE_0
	v_fma_f64 v[176:177], v[23:24], v[45:46], v[67:68]
	ds_read_b128 v[120:123], v89
	v_lshl_or_b32 v0, v0, 4, 0x1000
	s_clause 0x1
	global_load_dwordx4 v[37:40], v25, s[8:9]
	global_load_dwordx4 v[45:48], v0, s[8:9]
	v_bfe_u32 v0, v98, 16, 8
	s_waitcnt vmcnt(12) lgkmcnt(1)
	v_mul_f64 v[13:14], v[3:4], v[51:52]
	v_mul_f64 v[23:24], v[1:2], v[51:52]
	v_lshl_or_b32 v0, v0, 4, 0x2000
	global_load_dwordx4 v[148:151], v0, s[8:9]
	v_bfe_u32 v0, v69, 16, 8
	v_lshl_or_b32 v0, v0, 4, 0x2000
	v_fma_f64 v[166:167], v[1:2], v[49:50], v[13:14]
	s_waitcnt vmcnt(11)
	v_mul_f64 v[13:14], v[65:66], v[59:60]
	v_fma_f64 v[168:169], v[3:4], v[49:50], -v[23:24]
	ds_read_b128 v[23:26], v89 offset:1904
	ds_read_b128 v[49:52], v89 offset:30464
	v_mul_f64 v[1:2], v[72:73], v[55:56]
	v_mul_f64 v[3:4], v[70:71], v[55:56]
	v_fma_f64 v[170:171], v[63:64], v[57:58], v[13:14]
	s_waitcnt vmcnt(10) lgkmcnt(1)
	v_mul_f64 v[13:14], v[25:26], v[43:44]
	v_mul_f64 v[27:28], v[23:24], v[43:44]
	v_fma_f64 v[180:181], v[70:71], v[53:54], v[1:2]
	v_mul_f64 v[1:2], v[63:64], v[59:60]
	v_fma_f64 v[194:195], v[72:73], v[53:54], -v[3:4]
	global_load_dwordx4 v[73:76], v0, s[8:9]
	v_add_nc_u32_e32 v0, 0xdd, v103
	v_mul_lo_u32 v0, v91, v0
	v_fma_f64 v[196:197], v[23:24], v[41:42], v[13:14]
	s_waitcnt vmcnt(10) lgkmcnt(0)
	v_mul_f64 v[13:14], v[51:52], v[87:88]
	v_mul_f64 v[23:24], v[49:50], v[87:88]
	v_fma_f64 v[27:28], v[25:26], v[41:42], -v[27:28]
	v_fma_f64 v[172:173], v[65:66], v[57:58], -v[1:2]
	v_bfe_u32 v1, v61, 16, 8
	v_lshl_or_b32 v1, v1, 4, 0x2000
	v_fma_f64 v[198:199], v[49:50], v[85:86], v[13:14]
	v_fma_f64 v[200:201], v[51:52], v[85:86], -v[23:24]
	s_waitcnt vmcnt(8)
	v_mul_f64 v[13:14], v[21:22], v[17:18]
	v_mul_f64 v[17:18], v[19:20], v[17:18]
	v_fma_f64 v[2:3], v[19:20], v[15:16], -v[13:14]
	buffer_store_dword v2, off, s[64:67], 0 offset:80 ; 4-byte Folded Spill
	buffer_store_dword v3, off, s[64:67], 0 offset:84 ; 4-byte Folded Spill
	s_waitcnt vmcnt(6)
	v_mul_f64 v[13:14], v[7:8], v[11:12]
	v_mul_f64 v[11:12], v[5:6], v[11:12]
	v_fma_f64 v[2:3], v[21:22], v[15:16], v[17:18]
	buffer_store_dword v2, off, s[64:67], 0 offset:88 ; 4-byte Folded Spill
	buffer_store_dword v3, off, s[64:67], 0 offset:92 ; 4-byte Folded Spill
	v_fma_f64 v[23:24], v[5:6], v[9:10], -v[13:14]
	v_fma_f64 v[92:93], v[7:8], v[9:10], v[11:12]
	s_waitcnt vmcnt(4)
	v_mul_f64 v[9:10], v[29:30], v[35:36]
	v_mul_f64 v[19:20], v[31:32], v[35:36]
	v_bfe_u32 v2, v0, 16, 8
	s_waitcnt vmcnt(2)
	v_mul_f64 v[11:12], v[37:38], v[47:48]
	global_load_dwordx4 v[15:18], v1, s[8:9]
	v_lshl_or_b32 v2, v2, 4, 0x2000
	v_fma_f64 v[25:26], v[31:32], v[33:34], v[9:10]
	v_mul_f64 v[9:10], v[39:40], v[47:48]
	v_fma_f64 v[94:95], v[29:30], v[33:34], -v[19:20]
	global_load_dwordx4 v[19:22], v2, s[8:9]
	v_bfe_u32 v1, v62, 16, 8
	v_fma_f64 v[100:101], v[39:40], v[45:46], v[11:12]
	v_lshl_or_b32 v1, v1, 4, 0x2000
	global_load_dwordx4 v[5:8], v1, s[8:9]
	v_bfe_u32 v1, v0, 8, 8
	v_lshlrev_b32_sdwa v0, v90, v0 dst_sel:DWORD dst_unused:UNUSED_PAD src0_sel:DWORD src1_sel:BYTE_0
	v_lshl_or_b32 v1, v1, 4, 0x1000
	v_fma_f64 v[98:99], v[37:38], v[45:46], -v[9:10]
	s_clause 0x1
	global_load_dwordx4 v[9:12], v0, s[8:9]
	global_load_dwordx4 v[29:32], v1, s[8:9]
	v_add_nc_u32_e32 v0, 0xcc, v97
	v_add_nc_u32_e32 v1, 0xbb, v97
	v_mul_lo_u32 v0, v91, v0
	v_mul_lo_u32 v1, v91, v1
	v_bfe_u32 v2, v0, 8, 8
	v_bfe_u32 v3, v0, 16, 8
	;; [unrolled: 1-line block ×3, first 2 shown]
	v_lshlrev_b32_sdwa v0, v90, v0 dst_sel:DWORD dst_unused:UNUSED_PAD src0_sel:DWORD src1_sel:BYTE_0
	v_lshl_or_b32 v2, v2, 4, 0x1000
	v_lshl_or_b32 v3, v3, 4, 0x2000
	v_lshl_or_b32 v4, v4, 4, 0x2000
	s_waitcnt vmcnt(0)
	v_mul_f64 v[13:14], v[11:12], v[31:32]
	v_mul_f64 v[31:32], v[9:10], v[31:32]
	v_fma_f64 v[108:109], v[9:10], v[29:30], -v[13:14]
	v_fma_f64 v[110:111], v[11:12], v[29:30], v[31:32]
	s_clause 0x3
	global_load_dwordx4 v[9:12], v2, s[8:9]
	global_load_dwordx4 v[29:32], v0, s[8:9]
	;; [unrolled: 1-line block ×4, first 2 shown]
	v_bfe_u32 v0, v1, 8, 8
	v_lshlrev_b32_sdwa v1, v90, v1 dst_sel:DWORD dst_unused:UNUSED_PAD src0_sel:DWORD src1_sel:BYTE_0
	v_lshl_or_b32 v0, v0, 4, 0x1000
	s_waitcnt vmcnt(2)
	v_mul_f64 v[13:14], v[31:32], v[11:12]
	v_mul_f64 v[11:12], v[29:30], v[11:12]
	v_fma_f64 v[114:115], v[29:30], v[9:10], -v[13:14]
	v_fma_f64 v[116:117], v[31:32], v[9:10], v[11:12]
	s_clause 0x1
	global_load_dwordx4 v[9:12], v1, s[8:9]
	global_load_dwordx4 v[29:32], v0, s[8:9]
	v_add_nc_u32_e32 v0, 0xaa, v97
	v_add_nc_u32_e32 v1, 0x99, v97
	v_mul_lo_u32 v0, v91, v0
	v_mul_lo_u32 v1, v91, v1
	v_bfe_u32 v2, v0, 8, 8
	v_bfe_u32 v3, v0, 16, 8
	;; [unrolled: 1-line block ×3, first 2 shown]
	v_lshlrev_b32_sdwa v0, v90, v0 dst_sel:DWORD dst_unused:UNUSED_PAD src0_sel:DWORD src1_sel:BYTE_0
	v_lshl_or_b32 v2, v2, 4, 0x1000
	v_lshl_or_b32 v3, v3, 4, 0x2000
	;; [unrolled: 1-line block ×3, first 2 shown]
	s_waitcnt vmcnt(0)
	v_mul_f64 v[13:14], v[11:12], v[31:32]
	v_fma_f64 v[124:125], v[9:10], v[29:30], -v[13:14]
	v_mul_f64 v[9:10], v[9:10], v[31:32]
	v_fma_f64 v[126:127], v[11:12], v[29:30], v[9:10]
	s_clause 0x3
	global_load_dwordx4 v[9:12], v2, s[8:9]
	global_load_dwordx4 v[29:32], v0, s[8:9]
	global_load_dwordx4 v[41:44], v3, s[8:9]
	global_load_dwordx4 v[65:68], v4, s[8:9]
	v_bfe_u32 v0, v1, 8, 8
	v_lshlrev_b32_sdwa v1, v90, v1 dst_sel:DWORD dst_unused:UNUSED_PAD src0_sel:DWORD src1_sel:BYTE_0
	v_lshl_or_b32 v0, v0, 4, 0x1000
	s_waitcnt vmcnt(2)
	v_mul_f64 v[13:14], v[31:32], v[11:12]
	v_mul_f64 v[11:12], v[29:30], v[11:12]
	v_fma_f64 v[2:3], v[29:30], v[9:10], -v[13:14]
	buffer_store_dword v2, off, s[64:67], 0 offset:500 ; 4-byte Folded Spill
	buffer_store_dword v3, off, s[64:67], 0 offset:504 ; 4-byte Folded Spill
	v_fma_f64 v[2:3], v[31:32], v[9:10], v[11:12]
	buffer_store_dword v2, off, s[64:67], 0 offset:532 ; 4-byte Folded Spill
	buffer_store_dword v3, off, s[64:67], 0 offset:536 ; 4-byte Folded Spill
	s_clause 0x1
	global_load_dwordx4 v[9:12], v1, s[8:9]
	global_load_dwordx4 v[29:32], v0, s[8:9]
	s_waitcnt vmcnt(0)
	v_mul_f64 v[13:14], v[11:12], v[31:32]
	v_fma_f64 v[0:1], v[9:10], v[29:30], -v[13:14]
	v_mul_f64 v[9:10], v[9:10], v[31:32]
	buffer_store_dword v0, off, s[64:67], 0 offset:332 ; 4-byte Folded Spill
	buffer_store_dword v1, off, s[64:67], 0 offset:336 ; 4-byte Folded Spill
	v_fma_f64 v[0:1], v[11:12], v[29:30], v[9:10]
	buffer_store_dword v0, off, s[64:67], 0 offset:364 ; 4-byte Folded Spill
	buffer_store_dword v1, off, s[64:67], 0 offset:368 ; 4-byte Folded Spill
	v_add_nc_u32_e32 v0, 0x88, v97
	v_add_nc_u32_e32 v1, 0x77, v97
	v_mul_lo_u32 v0, v91, v0
	v_mul_lo_u32 v1, v91, v1
	v_bfe_u32 v2, v0, 8, 8
	v_bfe_u32 v3, v0, 16, 8
	v_bfe_u32 v4, v1, 16, 8
	v_lshlrev_b32_sdwa v0, v90, v0 dst_sel:DWORD dst_unused:UNUSED_PAD src0_sel:DWORD src1_sel:BYTE_0
	v_lshl_or_b32 v2, v2, 4, 0x1000
	v_lshl_or_b32 v3, v3, 4, 0x2000
	v_lshl_or_b32 v4, v4, 4, 0x2000
	s_clause 0x3
	global_load_dwordx4 v[9:12], v2, s[8:9]
	global_load_dwordx4 v[29:32], v0, s[8:9]
	global_load_dwordx4 v[53:56], v3, s[8:9]
	global_load_dwordx4 v[37:40], v4, s[8:9]
	v_bfe_u32 v0, v1, 8, 8
	v_lshlrev_b32_sdwa v1, v90, v1 dst_sel:DWORD dst_unused:UNUSED_PAD src0_sel:DWORD src1_sel:BYTE_0
	v_lshl_or_b32 v0, v0, 4, 0x1000
	s_waitcnt vmcnt(2)
	v_mul_f64 v[13:14], v[31:32], v[11:12]
	v_mul_f64 v[11:12], v[29:30], v[11:12]
	v_fma_f64 v[2:3], v[29:30], v[9:10], -v[13:14]
	buffer_store_dword v2, off, s[64:67], 0 offset:196 ; 4-byte Folded Spill
	buffer_store_dword v3, off, s[64:67], 0 offset:200 ; 4-byte Folded Spill
	v_fma_f64 v[2:3], v[31:32], v[9:10], v[11:12]
	buffer_store_dword v2, off, s[64:67], 0 offset:220 ; 4-byte Folded Spill
	buffer_store_dword v3, off, s[64:67], 0 offset:224 ; 4-byte Folded Spill
	s_clause 0x1
	global_load_dwordx4 v[9:12], v1, s[8:9]
	global_load_dwordx4 v[29:32], v0, s[8:9]
	s_waitcnt vmcnt(0)
	v_mul_f64 v[13:14], v[11:12], v[31:32]
	v_fma_f64 v[0:1], v[9:10], v[29:30], -v[13:14]
	v_mul_f64 v[9:10], v[9:10], v[31:32]
	buffer_store_dword v0, off, s[64:67], 0 offset:132 ; 4-byte Folded Spill
	buffer_store_dword v1, off, s[64:67], 0 offset:136 ; 4-byte Folded Spill
	v_fma_f64 v[0:1], v[11:12], v[29:30], v[9:10]
	buffer_store_dword v0, off, s[64:67], 0 offset:140 ; 4-byte Folded Spill
	buffer_store_dword v1, off, s[64:67], 0 offset:144 ; 4-byte Folded Spill
	v_add_nc_u32_e32 v0, 0x66, v97
	v_add_nc_u32_e32 v1, 0x55, v97
	v_mul_lo_u32 v0, v91, v0
	v_mul_lo_u32 v1, v91, v1
	v_bfe_u32 v2, v0, 8, 8
	v_bfe_u32 v3, v0, 16, 8
	v_bfe_u32 v4, v1, 16, 8
	v_lshlrev_b32_sdwa v0, v90, v0 dst_sel:DWORD dst_unused:UNUSED_PAD src0_sel:DWORD src1_sel:BYTE_0
	v_lshl_or_b32 v2, v2, 4, 0x1000
	v_lshl_or_b32 v3, v3, 4, 0x2000
	v_lshl_or_b32 v4, v4, 4, 0x2000
	;; [unrolled: 40-line block ×4, first 2 shown]
	s_clause 0x3
	global_load_dwordx4 v[9:12], v2, s[8:9]
	global_load_dwordx4 v[81:84], v0, s[8:9]
	;; [unrolled: 1-line block ×4, first 2 shown]
	v_lshlrev_b32_sdwa v0, v90, v1 dst_sel:DWORD dst_unused:UNUSED_PAD src0_sel:DWORD src1_sel:BYTE_0
	v_bfe_u32 v1, v1, 8, 8
	v_lshl_or_b32 v1, v1, 4, 0x1000
	s_waitcnt vmcnt(2)
	v_mul_f64 v[13:14], v[83:84], v[11:12]
	v_mul_f64 v[11:12], v[81:82], v[11:12]
	v_fma_f64 v[2:3], v[81:82], v[9:10], -v[13:14]
	buffer_store_dword v2, off, s[64:67], 0 offset:868 ; 4-byte Folded Spill
	buffer_store_dword v3, off, s[64:67], 0 offset:872 ; 4-byte Folded Spill
	v_fma_f64 v[2:3], v[83:84], v[9:10], v[11:12]
	buffer_store_dword v2, off, s[64:67], 0 offset:876 ; 4-byte Folded Spill
	buffer_store_dword v3, off, s[64:67], 0 offset:880 ; 4-byte Folded Spill
	s_clause 0x1
	global_load_dwordx4 v[81:84], v0, s[8:9]
	global_load_dwordx4 v[85:88], v1, s[8:9]
	s_waitcnt vmcnt(0)
	v_mul_f64 v[9:10], v[83:84], v[87:88]
	v_fma_f64 v[0:1], v[81:82], v[85:86], -v[9:10]
	v_mul_f64 v[9:10], v[81:82], v[87:88]
	buffer_store_dword v0, off, s[64:67], 0 offset:124 ; 4-byte Folded Spill
	buffer_store_dword v1, off, s[64:67], 0 offset:128 ; 4-byte Folded Spill
	v_fma_f64 v[0:1], v[83:84], v[85:86], v[9:10]
	buffer_store_dword v0, off, s[64:67], 0 offset:112 ; 4-byte Folded Spill
	buffer_store_dword v1, off, s[64:67], 0 offset:116 ; 4-byte Folded Spill
	;; [unrolled: 1-line block ×11, first 2 shown]
	v_mul_f64 v[9:10], v[92:93], v[75:76]
	v_fma_f64 v[9:10], v[73:74], v[23:24], -v[9:10]
	v_mul_f64 v[23:24], v[23:24], v[75:76]
	v_fma_f64 v[23:24], v[73:74], v[92:93], v[23:24]
	v_mul_f64 v[73:74], v[25:26], v[17:18]
	v_mul_f64 v[17:18], v[94:95], v[17:18]
	v_mov_b32_e32 v91, v249
	v_mov_b32_e32 v92, v250
	v_fma_f64 v[73:74], v[15:16], v[94:95], -v[73:74]
	v_fma_f64 v[81:82], v[15:16], v[25:26], v[17:18]
	v_mul_f64 v[17:18], v[100:101], v[7:8]
	v_mul_f64 v[7:8], v[98:99], v[7:8]
	v_fma_f64 v[128:129], v[5:6], v[98:99], -v[17:18]
	v_fma_f64 v[142:143], v[5:6], v[100:101], v[7:8]
	v_mul_f64 v[5:6], v[110:111], v[21:22]
	v_fma_f64 v[130:131], v[19:20], v[108:109], -v[5:6]
	v_mul_f64 v[5:6], v[108:109], v[21:22]
	v_fma_f64 v[140:141], v[19:20], v[110:111], v[5:6]
	v_mul_f64 v[5:6], v[116:117], v[35:36]
	v_fma_f64 v[75:76], v[33:34], v[114:115], -v[5:6]
	v_mul_f64 v[5:6], v[114:115], v[35:36]
	;; [unrolled: 4-line block ×3, first 2 shown]
	v_fma_f64 v[116:117], v[77:78], v[126:127], v[5:6]
	v_add_f64 v[178:179], v[196:197], -v[198:199]
	v_add_f64 v[5:6], v[27:28], v[200:201]
	v_add_f64 v[250:251], v[27:28], -v[200:201]
	v_add_f64 v[89:90], v[196:197], v[198:199]
	v_mul_f64 v[0:1], v[178:179], s[44:45]
	buffer_store_dword v0, off, s[64:67], 0 offset:756 ; 4-byte Folded Spill
	buffer_store_dword v1, off, s[64:67], 0 offset:760 ; 4-byte Folded Spill
	;; [unrolled: 1-line block ×6, first 2 shown]
	v_mul_f64 v[2:3], v[250:251], s[44:45]
	v_mul_f64 v[102:103], v[250:251], s[50:51]
	;; [unrolled: 1-line block ×6, first 2 shown]
	v_fma_f64 v[17:18], v[5:6], s[6:7], v[0:1]
	v_mov_b32_e32 v0, v172
	v_mov_b32_e32 v1, v173
	buffer_store_dword v0, off, s[64:67], 0 offset:204 ; 4-byte Folded Spill
	buffer_store_dword v1, off, s[64:67], 0 offset:208 ; 4-byte Folded Spill
	;; [unrolled: 1-line block ×4, first 2 shown]
	v_add_f64 v[248:249], v[180:181], -v[170:171]
	v_add_f64 v[180:181], v[180:181], v[170:171]
	v_add_f64 v[17:18], v[122:123], v[17:18]
	v_mul_f64 v[7:8], v[248:249], s[50:51]
	buffer_store_dword v7, off, s[64:67], 0 offset:276 ; 4-byte Folded Spill
	buffer_store_dword v8, off, s[64:67], 0 offset:280 ; 4-byte Folded Spill
	;; [unrolled: 1-line block ×4, first 2 shown]
	v_mul_f64 v[87:88], v[248:249], s[56:57]
	v_add_f64 v[252:253], v[194:195], -v[0:1]
	v_add_f64 v[172:173], v[194:195], v[0:1]
	v_mul_f64 v[0:1], v[252:253], s[50:51]
	buffer_store_dword v0, off, s[64:67], 0 offset:292 ; 4-byte Folded Spill
	buffer_store_dword v1, off, s[64:67], 0 offset:296 ; 4-byte Folded Spill
	;; [unrolled: 1-line block ×4, first 2 shown]
	v_fma_f64 v[19:20], v[172:173], s[24:25], v[7:8]
	v_mul_f64 v[98:99], v[252:253], s[56:57]
	v_mul_f64 v[79:80], v[252:253], s[54:55]
	v_add_f64 v[17:18], v[19:20], v[17:18]
	v_fma_f64 v[19:20], v[89:90], s[6:7], -v[2:3]
	v_fma_f64 v[246:247], v[180:181], s[22:23], -v[79:80]
	v_add_f64 v[19:20], v[120:121], v[19:20]
	v_fma_f64 v[21:22], v[180:181], s[24:25], -v[0:1]
	v_mov_b32_e32 v0, v176
	v_mov_b32_e32 v1, v177
	buffer_store_dword v0, off, s[64:67], 0 offset:476 ; 4-byte Folded Spill
	buffer_store_dword v1, off, s[64:67], 0 offset:480 ; 4-byte Folded Spill
	;; [unrolled: 1-line block ×6, first 2 shown]
	v_add_f64 v[19:20], v[21:22], v[19:20]
	v_add_f64 v[254:255], v[0:1], -v[166:167]
	v_add_f64 v[31:32], v[190:191], -v[168:169]
	v_add_f64 v[176:177], v[190:191], v[168:169]
	v_add_f64 v[190:191], v[0:1], v[166:167]
	v_mul_f64 v[2:3], v[254:255], s[52:53]
	buffer_store_dword v2, off, s[64:67], 0 offset:284 ; 4-byte Folded Spill
	buffer_store_dword v3, off, s[64:67], 0 offset:288 ; 4-byte Folded Spill
	v_mul_f64 v[0:1], v[31:32], s[52:53]
	buffer_store_dword v0, off, s[64:67], 0 offset:316 ; 4-byte Folded Spill
	buffer_store_dword v1, off, s[64:67], 0 offset:320 ; 4-byte Folded Spill
	;; [unrolled: 1-line block ×4, first 2 shown]
	v_mul_f64 v[100:101], v[254:255], s[54:55]
	v_fma_f64 v[21:22], v[176:177], s[16:17], v[2:3]
	v_add_f64 v[17:18], v[21:22], v[17:18]
	v_fma_f64 v[21:22], v[190:191], s[16:17], -v[0:1]
	v_mov_b32_e32 v0, v182
	v_mov_b32_e32 v1, v183
	buffer_store_dword v0, off, s[64:67], 0 offset:492 ; 4-byte Folded Spill
	buffer_store_dword v1, off, s[64:67], 0 offset:496 ; 4-byte Folded Spill
	buffer_store_dword v106, off, s[64:67], 0 offset:324 ; 4-byte Folded Spill
	buffer_store_dword v107, off, s[64:67], 0 offset:328 ; 4-byte Folded Spill
	buffer_store_dword v192, off, s[64:67], 0 offset:484 ; 4-byte Folded Spill
	buffer_store_dword v193, off, s[64:67], 0 offset:488 ; 4-byte Folded Spill
	v_add_f64 v[19:20], v[21:22], v[19:20]
	v_add_f64 v[25:26], v[0:1], -v[104:105]
	v_add_f64 v[29:30], v[192:193], -v[106:107]
	v_add_f64 v[198:199], v[0:1], v[104:105]
	v_add_f64 v[182:183], v[192:193], v[106:107]
	v_mul_f64 v[104:105], v[248:249], s[34:35]
	v_mul_f64 v[2:3], v[25:26], s[46:47]
	buffer_store_dword v2, off, s[64:67], 0 offset:300 ; 4-byte Folded Spill
	buffer_store_dword v3, off, s[64:67], 0 offset:304 ; 4-byte Folded Spill
	v_mul_f64 v[0:1], v[29:30], s[46:47]
	buffer_store_dword v0, off, s[64:67], 0 offset:348 ; 4-byte Folded Spill
	buffer_store_dword v1, off, s[64:67], 0 offset:352 ; 4-byte Folded Spill
	;; [unrolled: 1-line block ×8, first 2 shown]
	v_fma_f64 v[21:22], v[182:183], s[20:21], v[2:3]
	v_add_f64 v[17:18], v[21:22], v[17:18]
	v_fma_f64 v[21:22], v[198:199], s[20:21], -v[0:1]
	v_mov_b32_e32 v0, v188
	v_mov_b32_e32 v1, v189
	buffer_store_dword v0, off, s[64:67], 0 offset:508 ; 4-byte Folded Spill
	buffer_store_dword v1, off, s[64:67], 0 offset:512 ; 4-byte Folded Spill
	v_add_f64 v[126:127], v[174:175], -v[158:159]
	v_add_f64 v[210:211], v[174:175], v[158:159]
	v_add_f64 v[19:20], v[21:22], v[19:20]
	v_mul_f64 v[2:3], v[126:127], s[26:27]
	buffer_store_dword v2, off, s[64:67], 0 offset:308 ; 4-byte Folded Spill
	buffer_store_dword v3, off, s[64:67], 0 offset:312 ; 4-byte Folded Spill
	v_add_f64 v[27:28], v[0:1], -v[160:161]
	v_add_f64 v[188:189], v[0:1], v[160:161]
	v_mul_f64 v[0:1], v[27:28], s[26:27]
	buffer_store_dword v0, off, s[64:67], 0 offset:380 ; 4-byte Folded Spill
	buffer_store_dword v1, off, s[64:67], 0 offset:384 ; 4-byte Folded Spill
	v_fma_f64 v[21:22], v[188:189], s[22:23], v[2:3]
	v_add_f64 v[17:18], v[21:22], v[17:18]
	v_fma_f64 v[21:22], v[210:211], s[22:23], -v[0:1]
	v_mov_b32_e32 v0, v134
	v_mov_b32_e32 v1, v135
	buffer_store_dword v0, off, s[64:67], 0 offset:468 ; 4-byte Folded Spill
	buffer_store_dword v1, off, s[64:67], 0 offset:472 ; 4-byte Folded Spill
	;; [unrolled: 1-line block ×8, first 2 shown]
	v_add_f64 v[19:20], v[21:22], v[19:20]
	v_add_f64 v[11:12], v[162:163], -v[0:1]
	v_add_f64 v[134:135], v[164:165], -v[156:157]
	v_add_f64 v[220:221], v[162:163], v[0:1]
	v_add_f64 v[196:197], v[164:165], v[156:157]
	v_mul_f64 v[2:3], v[11:12], s[28:29]
	v_mul_f64 v[0:1], v[134:135], s[28:29]
	buffer_store_dword v2, off, s[64:67], 0 offset:340 ; 4-byte Folded Spill
	buffer_store_dword v3, off, s[64:67], 0 offset:344 ; 4-byte Folded Spill
	;; [unrolled: 1-line block ×12, first 2 shown]
	v_fma_f64 v[21:22], v[196:197], s[18:19], v[2:3]
	v_add_f64 v[7:8], v[152:153], -v[144:145]
	v_add_f64 v[208:209], v[154:155], v[146:147]
	v_add_f64 v[15:16], v[154:155], -v[146:147]
	v_add_f64 v[224:225], v[152:153], v[144:145]
	v_add_f64 v[17:18], v[21:22], v[17:18]
	v_fma_f64 v[21:22], v[220:221], s[18:19], -v[0:1]
	v_mul_f64 v[0:1], v[7:8], s[30:31]
	buffer_store_dword v0, off, s[64:67], 0 offset:372 ; 4-byte Folded Spill
	buffer_store_dword v1, off, s[64:67], 0 offset:376 ; 4-byte Folded Spill
	v_add_f64 v[19:20], v[21:22], v[19:20]
	v_fma_f64 v[21:22], v[208:209], s[14:15], v[0:1]
	v_mul_f64 v[0:1], v[15:16], s[30:31]
	buffer_store_dword v0, off, s[64:67], 0 offset:404 ; 4-byte Folded Spill
	buffer_store_dword v1, off, s[64:67], 0 offset:408 ; 4-byte Folded Spill
	;; [unrolled: 1-line block ×6, first 2 shown]
	v_add_f64 v[17:18], v[21:22], v[17:18]
	buffer_store_dword v118, off, s[64:67], 0 offset:596 ; 4-byte Folded Spill
	buffer_store_dword v119, off, s[64:67], 0 offset:600 ; 4-byte Folded Spill
	;; [unrolled: 1-line block ×4, first 2 shown]
	v_fma_f64 v[21:22], v[224:225], s[14:15], -v[0:1]
	v_add_f64 v[146:147], v[136:137], -v[138:139]
	v_add_f64 v[228:229], v[136:137], v[138:139]
	v_add_f64 v[214:215], v[118:119], v[132:133]
	v_add_f64 v[13:14], v[118:119], -v[132:133]
	v_add_f64 v[19:20], v[21:22], v[19:20]
	v_mul_f64 v[0:1], v[146:147], s[34:35]
	buffer_store_dword v0, off, s[64:67], 0 offset:388 ; 4-byte Folded Spill
	buffer_store_dword v1, off, s[64:67], 0 offset:392 ; 4-byte Folded Spill
	v_mul_f64 v[85:86], v[13:14], s[28:29]
	v_fma_f64 v[21:22], v[214:215], s[12:13], -v[0:1]
	v_mul_f64 v[0:1], v[13:14], s[34:35]
	buffer_store_dword v0, off, s[64:67], 0 offset:412 ; 4-byte Folded Spill
	buffer_store_dword v1, off, s[64:67], 0 offset:416 ; 4-byte Folded Spill
	v_add_f64 v[19:20], v[21:22], v[19:20]
	v_fma_f64 v[21:22], v[228:229], s[12:13], v[0:1]
	v_add_f64 v[17:18], v[21:22], v[17:18]
	v_mul_f64 v[21:22], v[19:20], v[23:24]
	v_mul_f64 v[23:24], v[17:18], v[23:24]
	v_fma_f64 v[2:3], v[17:18], v[9:10], -v[21:22]
	v_fma_f64 v[21:22], v[89:90], s[24:25], -v[102:103]
	v_fma_f64 v[17:18], v[5:6], s[24:25], v[93:94]
	v_fma_f64 v[0:1], v[19:20], v[9:10], v[23:24]
	buffer_store_dword v0, off, s[64:67], 0 ; 4-byte Folded Spill
	buffer_store_dword v1, off, s[64:67], 0 offset:4 ; 4-byte Folded Spill
	buffer_store_dword v2, off, s[64:67], 0 offset:8 ; 4-byte Folded Spill
	;; [unrolled: 1-line block ×3, first 2 shown]
	v_mul_f64 v[0:1], v[248:249], s[46:47]
	buffer_store_dword v0, off, s[64:67], 0 offset:684 ; 4-byte Folded Spill
	buffer_store_dword v1, off, s[64:67], 0 offset:688 ; 4-byte Folded Spill
	v_add_f64 v[21:22], v[120:121], v[21:22]
	v_add_f64 v[17:18], v[122:123], v[17:18]
	v_fma_f64 v[19:20], v[172:173], s[20:21], v[0:1]
	v_mul_f64 v[0:1], v[252:253], s[46:47]
	buffer_store_dword v0, off, s[64:67], 0 offset:636 ; 4-byte Folded Spill
	buffer_store_dword v1, off, s[64:67], 0 offset:640 ; 4-byte Folded Spill
	v_add_f64 v[17:18], v[19:20], v[17:18]
	v_mul_f64 v[19:20], v[7:8], s[40:41]
	v_fma_f64 v[23:24], v[180:181], s[20:21], -v[0:1]
	v_mul_f64 v[0:1], v[254:255], s[28:29]
	buffer_store_dword v0, off, s[64:67], 0 offset:692 ; 4-byte Folded Spill
	buffer_store_dword v1, off, s[64:67], 0 offset:696 ; 4-byte Folded Spill
	v_add_f64 v[21:22], v[23:24], v[21:22]
	v_fma_f64 v[23:24], v[176:177], s[18:19], v[0:1]
	v_mul_f64 v[0:1], v[31:32], s[28:29]
	buffer_store_dword v0, off, s[64:67], 0 offset:652 ; 4-byte Folded Spill
	buffer_store_dword v1, off, s[64:67], 0 offset:656 ; 4-byte Folded Spill
	v_add_f64 v[17:18], v[23:24], v[17:18]
	v_fma_f64 v[23:24], v[190:191], s[18:19], -v[0:1]
	v_mul_f64 v[0:1], v[25:26], s[34:35]
	buffer_store_dword v0, off, s[64:67], 0 offset:700 ; 4-byte Folded Spill
	buffer_store_dword v1, off, s[64:67], 0 offset:704 ; 4-byte Folded Spill
	v_add_f64 v[21:22], v[23:24], v[21:22]
	v_fma_f64 v[23:24], v[182:183], s[12:13], v[0:1]
	v_mul_f64 v[0:1], v[29:30], s[34:35]
	buffer_store_dword v0, off, s[64:67], 0 offset:660 ; 4-byte Folded Spill
	buffer_store_dword v1, off, s[64:67], 0 offset:664 ; 4-byte Folded Spill
	v_add_f64 v[17:18], v[23:24], v[17:18]
	;; [unrolled: 10-line block ×5, first 2 shown]
	v_fma_f64 v[23:24], v[224:225], s[16:17], -v[0:1]
	v_mul_f64 v[0:1], v[146:147], s[42:43]
	buffer_store_dword v0, off, s[64:67], 0 offset:620 ; 4-byte Folded Spill
	buffer_store_dword v1, off, s[64:67], 0 offset:624 ; 4-byte Folded Spill
	v_add_f64 v[21:22], v[23:24], v[21:22]
	v_fma_f64 v[23:24], v[214:215], s[6:7], -v[0:1]
	v_mul_f64 v[0:1], v[13:14], s[42:43]
	buffer_store_dword v0, off, s[64:67], 0 offset:612 ; 4-byte Folded Spill
	buffer_store_dword v1, off, s[64:67], 0 offset:616 ; 4-byte Folded Spill
	v_add_f64 v[21:22], v[23:24], v[21:22]
	v_fma_f64 v[23:24], v[228:229], s[6:7], v[0:1]
	v_add_f64 v[17:18], v[23:24], v[17:18]
	v_mul_f64 v[23:24], v[21:22], v[81:82]
	v_mul_f64 v[35:36], v[17:18], v[81:82]
	v_fma_f64 v[2:3], v[17:18], v[73:74], -v[23:24]
	v_mul_f64 v[81:82], v[178:179], s[52:53]
	v_fma_f64 v[0:1], v[21:22], v[73:74], v[35:36]
	buffer_store_dword v0, off, s[64:67], 0 offset:16 ; 4-byte Folded Spill
	buffer_store_dword v1, off, s[64:67], 0 offset:20 ; 4-byte Folded Spill
	;; [unrolled: 1-line block ×4, first 2 shown]
	v_mul_f64 v[0:1], v[248:249], s[28:29]
	buffer_store_dword v0, off, s[64:67], 0 offset:788 ; 4-byte Folded Spill
	buffer_store_dword v1, off, s[64:67], 0 offset:792 ; 4-byte Folded Spill
	v_fma_f64 v[17:18], v[5:6], s[16:17], v[81:82]
	v_mul_f64 v[35:36], v[25:26], s[48:49]
	v_add_f64 v[17:18], v[122:123], v[17:18]
	v_fma_f64 v[21:22], v[172:173], s[18:19], v[0:1]
	v_mul_f64 v[0:1], v[252:253], s[28:29]
	buffer_store_dword v0, off, s[64:67], 0 offset:740 ; 4-byte Folded Spill
	buffer_store_dword v1, off, s[64:67], 0 offset:744 ; 4-byte Folded Spill
	v_add_f64 v[17:18], v[21:22], v[17:18]
	v_fma_f64 v[21:22], v[89:90], s[16:17], -v[95:96]
	v_add_f64 v[21:22], v[120:121], v[21:22]
	v_fma_f64 v[23:24], v[180:181], s[18:19], -v[0:1]
	v_mul_f64 v[0:1], v[254:255], s[60:61]
	buffer_store_dword v0, off, s[64:67], 0 offset:804 ; 4-byte Folded Spill
	buffer_store_dword v1, off, s[64:67], 0 offset:808 ; 4-byte Folded Spill
	v_add_f64 v[21:22], v[23:24], v[21:22]
	v_fma_f64 v[23:24], v[176:177], s[12:13], v[0:1]
	v_mul_f64 v[0:1], v[31:32], s[60:61]
	buffer_store_dword v0, off, s[64:67], 0 offset:748 ; 4-byte Folded Spill
	buffer_store_dword v1, off, s[64:67], 0 offset:752 ; 4-byte Folded Spill
	v_add_f64 v[17:18], v[23:24], v[17:18]
	v_fma_f64 v[23:24], v[190:191], s[12:13], -v[0:1]
	v_mul_f64 v[0:1], v[25:26], s[54:55]
	buffer_store_dword v0, off, s[64:67], 0 offset:812 ; 4-byte Folded Spill
	buffer_store_dword v1, off, s[64:67], 0 offset:816 ; 4-byte Folded Spill
	v_add_f64 v[21:22], v[23:24], v[21:22]
	v_fma_f64 v[23:24], v[182:183], s[22:23], v[0:1]
	v_mul_f64 v[0:1], v[29:30], s[54:55]
	buffer_store_dword v0, off, s[64:67], 0 offset:764 ; 4-byte Folded Spill
	buffer_store_dword v1, off, s[64:67], 0 offset:768 ; 4-byte Folded Spill
	;; [unrolled: 10-line block ×4, first 2 shown]
	v_add_f64 v[17:18], v[23:24], v[17:18]
	v_fma_f64 v[23:24], v[220:221], s[6:7], -v[0:1]
	v_mul_f64 v[0:1], v[7:8], s[46:47]
	buffer_store_dword v0, off, s[64:67], 0 offset:860 ; 4-byte Folded Spill
	buffer_store_dword v1, off, s[64:67], 0 offset:864 ; 4-byte Folded Spill
	v_add_f64 v[21:22], v[23:24], v[21:22]
	v_fma_f64 v[23:24], v[172:173], s[12:13], v[104:105]
	v_fma_f64 v[73:74], v[208:209], s[20:21], v[0:1]
	v_mul_f64 v[0:1], v[15:16], s[46:47]
	buffer_store_dword v0, off, s[64:67], 0 offset:820 ; 4-byte Folded Spill
	buffer_store_dword v1, off, s[64:67], 0 offset:824 ; 4-byte Folded Spill
	v_add_f64 v[17:18], v[73:74], v[17:18]
	v_fma_f64 v[73:74], v[224:225], s[20:21], -v[0:1]
	v_mul_f64 v[0:1], v[146:147], s[30:31]
	buffer_store_dword v0, off, s[64:67], 0 offset:836 ; 4-byte Folded Spill
	buffer_store_dword v1, off, s[64:67], 0 offset:840 ; 4-byte Folded Spill
	v_add_f64 v[21:22], v[73:74], v[21:22]
	v_fma_f64 v[73:74], v[214:215], s[14:15], -v[0:1]
	v_mul_f64 v[0:1], v[13:14], s[30:31]
	buffer_store_dword v0, off, s[64:67], 0 offset:844 ; 4-byte Folded Spill
	buffer_store_dword v1, off, s[64:67], 0 offset:848 ; 4-byte Folded Spill
	v_add_f64 v[21:22], v[73:74], v[21:22]
	v_mul_f64 v[73:74], v[254:255], s[46:47]
	v_fma_f64 v[158:159], v[228:229], s[14:15], v[0:1]
	v_add_f64 v[17:18], v[158:159], v[17:18]
	v_mul_f64 v[158:159], v[21:22], v[142:143]
	v_mul_f64 v[142:143], v[17:18], v[142:143]
	v_fma_f64 v[2:3], v[17:18], v[128:129], -v[158:159]
	v_mul_f64 v[158:159], v[178:179], s[46:47]
	v_fma_f64 v[0:1], v[21:22], v[128:129], v[142:143]
	buffer_store_dword v0, off, s[64:67], 0 offset:32 ; 4-byte Folded Spill
	buffer_store_dword v1, off, s[64:67], 0 offset:36 ; 4-byte Folded Spill
	;; [unrolled: 1-line block ×4, first 2 shown]
	v_mul_f64 v[0:1], v[252:253], s[34:35]
	buffer_store_dword v0, off, s[64:67], 0 offset:884 ; 4-byte Folded Spill
	buffer_store_dword v1, off, s[64:67], 0 offset:888 ; 4-byte Folded Spill
	v_fma_f64 v[17:18], v[5:6], s[20:21], v[158:159]
	v_mul_f64 v[21:22], v[11:12], s[34:35]
	v_add_f64 v[17:18], v[122:123], v[17:18]
	v_add_f64 v[17:18], v[23:24], v[17:18]
	v_fma_f64 v[23:24], v[89:90], s[20:21], -v[83:84]
	v_add_f64 v[128:129], v[120:121], v[23:24]
	v_mul_f64 v[23:24], v[126:127], s[44:45]
	v_fma_f64 v[142:143], v[180:181], s[12:13], -v[0:1]
	v_mul_f64 v[0:1], v[31:32], s[54:55]
	buffer_store_dword v0, off, s[64:67], 0 offset:892 ; 4-byte Folded Spill
	buffer_store_dword v1, off, s[64:67], 0 offset:896 ; 4-byte Folded Spill
	v_add_f64 v[128:129], v[142:143], v[128:129]
	v_fma_f64 v[142:143], v[176:177], s[22:23], v[100:101]
	v_add_f64 v[142:143], v[142:143], v[17:18]
	v_mul_f64 v[17:18], v[252:253], s[38:39]
	v_mul_f64 v[252:253], v[252:253], s[42:43]
	v_fma_f64 v[166:167], v[190:191], s[22:23], -v[0:1]
	v_add_f64 v[128:129], v[166:167], v[128:129]
	v_mul_f64 v[166:167], v[25:26], s[42:43]
	v_fma_f64 v[168:169], v[182:183], s[6:7], v[166:167]
	v_add_f64 v[142:143], v[168:169], v[142:143]
	v_mul_f64 v[168:169], v[29:30], s[42:43]
	v_fma_f64 v[170:171], v[198:199], s[6:7], -v[168:169]
	v_add_f64 v[128:129], v[170:171], v[128:129]
	v_mul_f64 v[170:171], v[126:127], s[52:53]
	v_fma_f64 v[174:175], v[188:189], s[16:17], v[170:171]
	v_add_f64 v[142:143], v[174:175], v[142:143]
	;; [unrolled: 6-line block ×4, first 2 shown]
	v_mul_f64 v[192:193], v[15:16], s[48:49]
	v_fma_f64 v[194:195], v[224:225], s[18:19], -v[192:193]
	v_add_f64 v[128:129], v[194:195], v[128:129]
	v_mul_f64 v[194:195], v[146:147], s[40:41]
	v_fma_f64 v[200:201], v[214:215], s[24:25], -v[194:195]
	v_add_f64 v[128:129], v[200:201], v[128:129]
	v_mul_f64 v[200:201], v[13:14], s[40:41]
	v_fma_f64 v[202:203], v[228:229], s[24:25], v[200:201]
	v_add_f64 v[142:143], v[202:203], v[142:143]
	v_mul_f64 v[202:203], v[128:129], v[140:141]
	v_mul_f64 v[140:141], v[142:143], v[140:141]
	v_fma_f64 v[2:3], v[142:143], v[130:131], -v[202:203]
	v_mul_f64 v[202:203], v[178:179], s[26:27]
	v_fma_f64 v[0:1], v[128:129], v[130:131], v[140:141]
	v_fma_f64 v[130:131], v[172:173], s[14:15], v[87:88]
	;; [unrolled: 1-line block ×3, first 2 shown]
	v_fma_f64 v[140:141], v[180:181], s[14:15], -v[98:99]
	buffer_store_dword v0, off, s[64:67], 0 offset:48 ; 4-byte Folded Spill
	buffer_store_dword v1, off, s[64:67], 0 offset:52 ; 4-byte Folded Spill
	;; [unrolled: 1-line block ×4, first 2 shown]
	v_add_f64 v[128:129], v[122:123], v[128:129]
	v_add_f64 v[128:129], v[130:131], v[128:129]
	v_fma_f64 v[130:131], v[89:90], s[22:23], -v[77:78]
	v_add_f64 v[130:131], v[120:121], v[130:131]
	v_add_f64 v[130:131], v[140:141], v[130:131]
	v_mul_f64 v[140:141], v[254:255], s[40:41]
	v_fma_f64 v[142:143], v[176:177], s[24:25], v[140:141]
	v_add_f64 v[128:129], v[142:143], v[128:129]
	v_mul_f64 v[142:143], v[31:32], s[40:41]
	v_fma_f64 v[216:217], v[190:191], s[24:25], -v[142:143]
	v_add_f64 v[130:131], v[216:217], v[130:131]
	v_mul_f64 v[216:217], v[25:26], s[52:53]
	v_fma_f64 v[218:219], v[182:183], s[16:17], v[216:217]
	v_add_f64 v[128:129], v[218:219], v[128:129]
	v_mul_f64 v[218:219], v[29:30], s[52:53]
	v_fma_f64 v[222:223], v[198:199], s[16:17], -v[218:219]
	;; [unrolled: 6-line block ×5, first 2 shown]
	v_add_f64 v[130:131], v[238:239], v[130:131]
	v_mul_f64 v[238:239], v[146:147], s[28:29]
	v_fma_f64 v[240:241], v[214:215], s[18:19], -v[238:239]
	v_add_f64 v[240:241], v[240:241], v[130:131]
	v_fma_f64 v[130:131], v[228:229], s[18:19], v[85:86]
	v_add_f64 v[128:129], v[130:131], v[128:129]
	v_mul_f64 v[130:131], v[240:241], v[114:115]
	v_mul_f64 v[114:115], v[128:129], v[114:115]
	v_fma_f64 v[2:3], v[128:129], v[75:76], -v[130:131]
	v_fma_f64 v[0:1], v[240:241], v[75:76], v[114:115]
	v_mul_f64 v[75:76], v[178:179], s[28:29]
	v_mul_f64 v[240:241], v[248:249], s[54:55]
	buffer_store_dword v0, off, s[64:67], 0 offset:64 ; 4-byte Folded Spill
	buffer_store_dword v1, off, s[64:67], 0 offset:68 ; 4-byte Folded Spill
	;; [unrolled: 1-line block ×4, first 2 shown]
	v_fma_f64 v[114:115], v[5:6], s[18:19], v[75:76]
	v_fma_f64 v[128:129], v[172:173], s[22:23], v[240:241]
	v_add_f64 v[114:115], v[122:123], v[114:115]
	v_add_f64 v[114:115], v[128:129], v[114:115]
	v_mul_f64 v[128:129], v[250:251], s[28:29]
	v_fma_f64 v[130:131], v[89:90], s[18:19], -v[128:129]
	v_add_f64 v[130:131], v[120:121], v[130:131]
	v_add_f64 v[130:131], v[246:247], v[130:131]
	v_mul_f64 v[246:247], v[254:255], s[44:45]
	v_fma_f64 v[244:245], v[176:177], s[6:7], v[246:247]
	v_add_f64 v[114:115], v[244:245], v[114:115]
	v_mul_f64 v[244:245], v[31:32], s[44:45]
	v_fma_f64 v[212:213], v[190:191], s[6:7], -v[244:245]
	v_add_f64 v[130:131], v[212:213], v[130:131]
	v_mul_f64 v[212:213], v[25:26], s[30:31]
	v_mul_f64 v[25:26], v[25:26], s[40:41]
	v_fma_f64 v[242:243], v[182:183], s[14:15], v[212:213]
	v_add_f64 v[114:115], v[242:243], v[114:115]
	v_mul_f64 v[242:243], v[29:30], s[30:31]
	v_fma_f64 v[206:207], v[198:199], s[14:15], -v[242:243]
	v_add_f64 v[130:131], v[206:207], v[130:131]
	v_mul_f64 v[206:207], v[126:127], s[36:37]
	;; [unrolled: 7-line block ×3, first 2 shown]
	v_mul_f64 v[11:12], v[11:12], s[38:39]
	v_fma_f64 v[154:155], v[196:197], s[24:25], v[156:157]
	v_add_f64 v[114:115], v[154:155], v[114:115]
	v_mul_f64 v[154:155], v[7:8], s[34:35]
	v_mul_f64 v[7:8], v[7:8], s[26:27]
	v_fma_f64 v[152:153], v[208:209], s[12:13], v[154:155]
	v_add_f64 v[114:115], v[152:153], v[114:115]
	v_mul_f64 v[152:153], v[134:135], s[50:51]
	v_fma_f64 v[144:145], v[220:221], s[24:25], -v[152:153]
	v_add_f64 v[130:131], v[144:145], v[130:131]
	v_mul_f64 v[144:145], v[15:16], s[34:35]
	v_fma_f64 v[138:139], v[224:225], s[12:13], -v[144:145]
	v_add_f64 v[130:131], v[138:139], v[130:131]
	v_mul_f64 v[138:139], v[146:147], s[38:39]
	v_fma_f64 v[136:137], v[214:215], s[16:17], -v[138:139]
	v_add_f64 v[130:131], v[136:137], v[130:131]
	v_mul_f64 v[136:137], v[13:14], s[38:39]
	v_fma_f64 v[132:133], v[228:229], s[16:17], v[136:137]
	v_add_f64 v[114:115], v[132:133], v[114:115]
	v_mul_f64 v[132:133], v[130:131], v[116:117]
	v_mul_f64 v[0:1], v[114:115], v[116:117]
	v_fma_f64 v[2:3], v[114:115], v[33:34], -v[132:133]
	v_mul_f64 v[132:133], v[248:249], s[38:39]
	v_fma_f64 v[114:115], v[180:181], s[16:17], -v[17:18]
	v_fma_f64 v[17:18], v[180:181], s[16:17], v[17:18]
	v_fma_f64 v[0:1], v[130:131], v[33:34], v[0:1]
	buffer_store_dword v0, off, s[64:67], 0 offset:96 ; 4-byte Folded Spill
	buffer_store_dword v1, off, s[64:67], 0 offset:100 ; 4-byte Folded Spill
	;; [unrolled: 1-line block ×4, first 2 shown]
	s_clause 0x3
	buffer_load_dword v9, off, s[64:67], 0 offset:532
	buffer_load_dword v10, off, s[64:67], 0 offset:536
	;; [unrolled: 1-line block ×4, first 2 shown]
	v_mul_f64 v[130:131], v[178:179], s[30:31]
	s_waitcnt vmcnt(2)
	v_mul_f64 v[0:1], v[9:10], v[43:44]
	s_waitcnt vmcnt(0)
	v_mul_f64 v[33:34], v[2:3], v[43:44]
	v_fma_f64 v[43:44], v[172:173], s[16:17], v[132:133]
	v_fma_f64 v[0:1], v[41:42], v[2:3], -v[0:1]
	v_fma_f64 v[33:34], v[41:42], v[9:10], v[33:34]
	v_fma_f64 v[41:42], v[5:6], s[14:15], v[130:131]
	v_mul_f64 v[2:3], v[250:251], s[30:31]
	v_mul_f64 v[9:10], v[13:14], s[26:27]
	v_mul_f64 v[250:251], v[250:251], s[34:35]
	v_mul_f64 v[13:14], v[13:14], s[36:37]
	v_add_f64 v[41:42], v[122:123], v[41:42]
	v_add_f64 v[41:42], v[43:44], v[41:42]
	v_fma_f64 v[43:44], v[176:177], s[20:21], v[73:74]
	v_fma_f64 v[73:74], v[176:177], s[20:21], -v[73:74]
	v_add_f64 v[41:42], v[43:44], v[41:42]
	v_fma_f64 v[43:44], v[182:183], s[18:19], v[35:36]
	v_fma_f64 v[35:36], v[182:183], s[18:19], -v[35:36]
	;; [unrolled: 3-line block ×5, first 2 shown]
	v_add_f64 v[41:42], v[43:44], v[41:42]
	v_fma_f64 v[43:44], v[89:90], s[14:15], -v[2:3]
	v_fma_f64 v[2:3], v[89:90], s[14:15], v[2:3]
	v_add_f64 v[43:44], v[120:121], v[43:44]
	v_add_f64 v[2:3], v[120:121], v[2:3]
	;; [unrolled: 1-line block ×3, first 2 shown]
	v_mul_f64 v[114:115], v[31:32], s[46:47]
	v_mul_f64 v[31:32], v[31:32], s[30:31]
	v_add_f64 v[2:3], v[17:18], v[2:3]
	v_fma_f64 v[116:117], v[190:191], s[20:21], -v[114:115]
	v_fma_f64 v[17:18], v[190:191], s[20:21], v[114:115]
	v_add_f64 v[43:44], v[116:117], v[43:44]
	v_mul_f64 v[116:117], v[29:30], s[48:49]
	v_mul_f64 v[29:30], v[29:30], s[40:41]
	v_add_f64 v[2:3], v[17:18], v[2:3]
	v_fma_f64 v[124:125], v[198:199], s[18:19], -v[116:117]
	v_fma_f64 v[17:18], v[198:199], s[18:19], v[116:117]
	v_add_f64 v[43:44], v[124:125], v[43:44]
	;; [unrolled: 6-line block ×6, first 2 shown]
	v_fma_f64 v[43:44], v[228:229], s[22:23], v[9:10]
	v_add_f64 v[17:18], v[17:18], v[2:3]
	v_fma_f64 v[2:3], v[228:229], s[22:23], -v[9:10]
	v_fma_f64 v[9:10], v[172:173], s[22:23], -v[240:241]
	v_add_f64 v[41:42], v[43:44], v[41:42]
	v_mul_f64 v[43:44], v[111:112], v[33:34]
	v_mul_f64 v[33:34], v[41:42], v[33:34]
	v_fma_f64 v[43:44], v[41:42], v[0:1], -v[43:44]
	v_fma_f64 v[41:42], v[111:112], v[0:1], v[33:34]
	s_clause 0x3
	buffer_load_dword v111, off, s[64:67], 0 offset:364
	buffer_load_dword v112, off, s[64:67], 0 offset:368
	;; [unrolled: 1-line block ×4, first 2 shown]
	s_waitcnt vmcnt(2)
	v_mul_f64 v[0:1], v[111:112], v[67:68]
	s_waitcnt vmcnt(0)
	v_fma_f64 v[0:1], v[65:66], v[33:34], -v[0:1]
	v_mul_f64 v[33:34], v[33:34], v[67:68]
	v_fma_f64 v[33:34], v[65:66], v[111:112], v[33:34]
	v_mul_f64 v[111:112], v[178:179], s[34:35]
	v_mul_f64 v[178:179], v[248:249], s[42:43]
	;; [unrolled: 1-line block ×3, first 2 shown]
	v_fma_f64 v[254:255], v[180:181], s[6:7], -v[252:253]
	v_fma_f64 v[65:66], v[5:6], s[12:13], v[111:112]
	v_fma_f64 v[67:68], v[172:173], s[6:7], v[178:179]
	v_add_f64 v[65:66], v[122:123], v[65:66]
	v_add_f64 v[65:66], v[67:68], v[65:66]
	v_fma_f64 v[67:68], v[176:177], s[14:15], v[248:249]
	v_add_f64 v[65:66], v[67:68], v[65:66]
	v_fma_f64 v[67:68], v[182:183], s[24:25], v[25:26]
	v_fma_f64 v[25:26], v[182:183], s[24:25], -v[25:26]
	v_add_f64 v[65:66], v[67:68], v[65:66]
	v_fma_f64 v[67:68], v[188:189], s[18:19], v[126:127]
	v_add_f64 v[65:66], v[67:68], v[65:66]
	v_fma_f64 v[67:68], v[196:197], s[16:17], v[11:12]
	v_fma_f64 v[11:12], v[196:197], s[16:17], -v[11:12]
	v_add_f64 v[65:66], v[67:68], v[65:66]
	v_fma_f64 v[67:68], v[208:209], s[22:23], v[7:8]
	v_fma_f64 v[7:8], v[208:209], s[22:23], -v[7:8]
	v_add_f64 v[65:66], v[67:68], v[65:66]
	v_fma_f64 v[67:68], v[89:90], s[12:13], -v[250:251]
	v_add_f64 v[67:68], v[120:121], v[67:68]
	v_add_f64 v[67:68], v[254:255], v[67:68]
	v_fma_f64 v[254:255], v[190:191], s[14:15], -v[31:32]
	v_add_f64 v[67:68], v[254:255], v[67:68]
	v_fma_f64 v[254:255], v[198:199], s[24:25], -v[29:30]
	;; [unrolled: 2-line block ×5, first 2 shown]
	v_fma_f64 v[15:16], v[224:225], s[22:23], v[15:16]
	v_add_f64 v[67:68], v[254:255], v[67:68]
	v_fma_f64 v[254:255], v[214:215], s[20:21], -v[146:147]
	v_add_f64 v[254:255], v[254:255], v[67:68]
	v_fma_f64 v[67:68], v[228:229], s[20:21], v[13:14]
	v_fma_f64 v[13:14], v[228:229], s[20:21], -v[13:14]
	v_add_f64 v[65:66], v[67:68], v[65:66]
	v_mul_f64 v[67:68], v[254:255], v[33:34]
	v_mul_f64 v[33:34], v[65:66], v[33:34]
	v_fma_f64 v[67:68], v[65:66], v[0:1], -v[67:68]
	v_fma_f64 v[65:66], v[254:255], v[0:1], v[33:34]
	s_clause 0x3
	buffer_load_dword v254, off, s[64:67], 0 offset:220
	buffer_load_dword v255, off, s[64:67], 0 offset:224
	;; [unrolled: 1-line block ×4, first 2 shown]
	s_waitcnt vmcnt(2)
	v_mul_f64 v[0:1], v[254:255], v[55:56]
	s_waitcnt vmcnt(0)
	v_fma_f64 v[0:1], v[53:54], v[33:34], -v[0:1]
	v_mul_f64 v[33:34], v[33:34], v[55:56]
	v_fma_f64 v[55:56], v[172:173], s[6:7], -v[178:179]
	v_fma_f64 v[33:34], v[53:54], v[254:255], v[33:34]
	v_fma_f64 v[53:54], v[5:6], s[12:13], -v[111:112]
	v_add_f64 v[53:54], v[122:123], v[53:54]
	v_add_f64 v[53:54], v[55:56], v[53:54]
	v_fma_f64 v[55:56], v[176:177], s[14:15], -v[248:249]
	v_add_f64 v[53:54], v[55:56], v[53:54]
	v_add_f64 v[25:26], v[25:26], v[53:54]
	;; [unrolled: 3-line block ×3, first 2 shown]
	v_fma_f64 v[25:26], v[180:181], s[6:7], v[252:253]
	v_add_f64 v[7:8], v[7:8], v[11:12]
	v_fma_f64 v[11:12], v[89:90], s[12:13], v[250:251]
	v_add_f64 v[7:8], v[13:14], v[7:8]
	v_add_f64 v[11:12], v[120:121], v[11:12]
	;; [unrolled: 1-line block ×3, first 2 shown]
	v_fma_f64 v[25:26], v[190:191], s[14:15], v[31:32]
	v_add_f64 v[11:12], v[25:26], v[11:12]
	v_fma_f64 v[25:26], v[198:199], s[24:25], v[29:30]
	v_add_f64 v[11:12], v[25:26], v[11:12]
	;; [unrolled: 2-line block ×4, first 2 shown]
	v_add_f64 v[11:12], v[15:16], v[11:12]
	v_fma_f64 v[15:16], v[214:215], s[20:21], v[146:147]
	v_add_f64 v[11:12], v[15:16], v[11:12]
	v_mul_f64 v[15:16], v[7:8], v[33:34]
	v_mul_f64 v[13:14], v[11:12], v[33:34]
	v_fma_f64 v[53:54], v[11:12], v[0:1], v[15:16]
	s_clause 0x1
	buffer_load_dword v11, off, s[64:67], 0 offset:140
	buffer_load_dword v12, off, s[64:67], 0 offset:144
	v_fma_f64 v[55:56], v[7:8], v[0:1], -v[13:14]
	s_clause 0xd
	buffer_load_dword v7, off, s[64:67], 0 offset:132
	buffer_load_dword v8, off, s[64:67], 0 offset:136
	;; [unrolled: 1-line block ×14, first 2 shown]
	s_waitcnt vmcnt(14)
	v_mul_f64 v[0:1], v[11:12], v[39:40]
	s_waitcnt vmcnt(12)
	v_fma_f64 v[0:1], v[37:38], v[7:8], -v[0:1]
	v_mul_f64 v[7:8], v[7:8], v[39:40]
	v_fma_f64 v[7:8], v[37:38], v[11:12], v[7:8]
	s_waitcnt vmcnt(10)
	v_mul_f64 v[11:12], v[15:16], v[51:52]
	s_clause 0x3
	buffer_load_dword v37, off, s[64:67], 0 offset:244
	buffer_load_dword v38, off, s[64:67], 0 offset:248
	buffer_load_dword v33, off, s[64:67], 0 offset:252
	buffer_load_dword v34, off, s[64:67], 0 offset:256
	s_waitcnt vmcnt(12)
	v_fma_f64 v[11:12], v[49:50], v[13:14], -v[11:12]
	v_mul_f64 v[13:14], v[13:14], v[51:52]
	v_fma_f64 v[51:52], v[5:6], s[18:19], -v[75:76]
	v_fma_f64 v[75:76], v[89:90], s[20:21], v[83:84]
	v_fma_f64 v[13:14], v[49:50], v[15:16], v[13:14]
	s_waitcnt vmcnt(10)
	v_mul_f64 v[15:16], v[27:28], v[47:48]
	v_add_f64 v[51:52], v[122:123], v[51:52]
	v_add_f64 v[75:76], v[120:121], v[75:76]
	s_waitcnt vmcnt(8)
	v_fma_f64 v[15:16], v[45:46], v[25:26], -v[15:16]
	v_mul_f64 v[25:26], v[25:26], v[47:48]
	v_add_f64 v[9:10], v[9:10], v[51:52]
	v_fma_f64 v[25:26], v[45:46], v[27:28], v[25:26]
	s_clause 0x7
	buffer_load_dword v45, off, s[64:67], 0 offset:868
	buffer_load_dword v46, off, s[64:67], 0 offset:872
	;; [unrolled: 1-line block ×8, first 2 shown]
	s_waitcnt vmcnt(14)
	v_mul_f64 v[27:28], v[31:32], v[63:64]
	s_waitcnt vmcnt(12)
	v_fma_f64 v[27:28], v[61:62], v[29:30], v[27:28]
	v_mul_f64 v[29:30], v[29:30], v[63:64]
	v_fma_f64 v[63:64], v[5:6], s[24:25], -v[93:94]
	v_fma_f64 v[29:30], v[61:62], v[31:32], -v[29:30]
	;; [unrolled: 1-line block ×3, first 2 shown]
	v_fma_f64 v[81:82], v[89:90], s[24:25], v[102:103]
	v_add_f64 v[63:64], v[122:123], v[63:64]
	v_add_f64 v[61:62], v[122:123], v[61:62]
	;; [unrolled: 1-line block ×3, first 2 shown]
	s_waitcnt vmcnt(10)
	v_mul_f64 v[31:32], v[37:38], v[59:60]
	s_waitcnt vmcnt(8)
	v_fma_f64 v[31:32], v[57:58], v[33:34], v[31:32]
	v_mul_f64 v[33:34], v[33:34], v[59:60]
	v_fma_f64 v[59:60], v[5:6], s[20:21], -v[158:159]
	v_fma_f64 v[33:34], v[57:58], v[37:38], -v[33:34]
	;; [unrolled: 1-line block ×3, first 2 shown]
	v_add_f64 v[59:60], v[122:123], v[59:60]
	v_add_f64 v[57:58], v[122:123], v[57:58]
	s_waitcnt vmcnt(6)
	v_mul_f64 v[37:38], v[45:46], v[71:72]
	s_waitcnt vmcnt(4)
	v_fma_f64 v[37:38], v[69:70], v[39:40], v[37:38]
	v_mul_f64 v[39:40], v[39:40], v[71:72]
	v_fma_f64 v[71:72], v[89:90], s[22:23], v[77:78]
	v_fma_f64 v[77:78], v[89:90], s[16:17], v[95:96]
	v_fma_f64 v[95:96], v[172:173], s[16:17], -v[132:133]
	v_fma_f64 v[39:40], v[69:70], v[45:46], -v[39:40]
	s_clause 0x1
	buffer_load_dword v69, off, s[64:67], 0 offset:756
	buffer_load_dword v70, off, s[64:67], 0 offset:760
	s_waitcnt vmcnt(4)
	v_mul_f64 v[45:46], v[49:50], v[150:151]
	s_clause 0x1
	buffer_load_dword v83, off, s[64:67], 0 offset:780
	buffer_load_dword v84, off, s[64:67], 0 offset:784
	v_add_f64 v[71:72], v[120:121], v[71:72]
	v_add_f64 v[77:78], v[120:121], v[77:78]
	s_waitcnt vmcnt(4)
	v_fma_f64 v[45:46], v[148:149], v[47:48], v[45:46]
	v_mul_f64 v[47:48], v[47:48], v[150:151]
	v_fma_f64 v[47:48], v[148:149], v[49:50], -v[47:48]
	v_fma_f64 v[49:50], v[5:6], s[14:15], -v[130:131]
	v_add_f64 v[49:50], v[122:123], v[49:50]
	v_add_f64 v[49:50], v[95:96], v[49:50]
	;; [unrolled: 1-line block ×4, first 2 shown]
	v_fma_f64 v[49:50], v[176:177], s[22:23], -v[100:101]
	v_add_f64 v[23:24], v[23:24], v[35:36]
	v_fma_f64 v[35:36], v[190:191], s[24:25], v[142:143]
	v_add_f64 v[21:22], v[21:22], v[23:24]
	v_fma_f64 v[23:24], v[176:177], s[24:25], -v[140:141]
	v_add_f64 v[19:20], v[19:20], v[21:22]
	v_fma_f64 v[21:22], v[190:191], s[6:7], v[244:245]
	v_add_f64 v[2:3], v[2:3], v[19:20]
	v_fma_f64 v[19:20], v[176:177], s[6:7], -v[246:247]
	v_add_f64 v[9:10], v[19:20], v[9:10]
	v_fma_f64 v[19:20], v[182:183], s[14:15], -v[212:213]
	;; [unrolled: 2-line block ×5, first 2 shown]
	s_waitcnt vmcnt(2)
	v_fma_f64 v[4:5], v[5:6], s[6:7], -v[69:70]
	v_fma_f64 v[69:70], v[89:90], s[18:19], v[128:129]
	s_waitcnt vmcnt(0)
	v_fma_f64 v[83:84], v[89:90], s[6:7], v[83:84]
	s_clause 0x3
	buffer_load_dword v89, off, s[64:67], 0 offset:732
	buffer_load_dword v90, off, s[64:67], 0 offset:736
	;; [unrolled: 1-line block ×4, first 2 shown]
	v_add_f64 v[9:10], v[19:20], v[9:10]
	v_fma_f64 v[19:20], v[180:181], s[22:23], v[79:80]
	v_add_f64 v[4:5], v[122:123], v[4:5]
	v_add_f64 v[69:70], v[120:121], v[69:70]
	;; [unrolled: 1-line block ×5, first 2 shown]
	v_fma_f64 v[21:22], v[198:199], s[14:15], v[242:243]
	v_add_f64 v[19:20], v[21:22], v[19:20]
	v_fma_f64 v[21:22], v[210:211], s[20:21], v[204:205]
	v_add_f64 v[19:20], v[21:22], v[19:20]
	;; [unrolled: 2-line block ×5, first 2 shown]
	v_fma_f64 v[21:22], v[228:229], s[16:17], -v[136:137]
	v_add_f64 v[9:10], v[21:22], v[9:10]
	v_fma_f64 v[21:22], v[172:173], s[14:15], -v[87:88]
	v_add_f64 v[21:22], v[21:22], v[57:58]
	v_add_f64 v[21:22], v[23:24], v[21:22]
	v_fma_f64 v[23:24], v[182:183], s[16:17], -v[216:217]
	v_add_f64 v[21:22], v[23:24], v[21:22]
	v_fma_f64 v[23:24], v[188:189], s[12:13], -v[222:223]
	v_add_f64 v[21:22], v[23:24], v[21:22]
	v_fma_f64 v[23:24], v[196:197], s[20:21], -v[230:231]
	v_add_f64 v[21:22], v[23:24], v[21:22]
	v_fma_f64 v[23:24], v[208:209], s[6:7], -v[234:235]
	s_waitcnt vmcnt(2)
	v_add_f64 v[89:90], v[120:121], v[89:90]
	s_waitcnt vmcnt(0)
	v_add_f64 v[93:94], v[122:123], v[93:94]
	v_add_f64 v[21:22], v[23:24], v[21:22]
	v_fma_f64 v[23:24], v[180:181], s[14:15], v[98:99]
	v_add_f64 v[23:24], v[23:24], v[71:72]
	v_add_f64 v[23:24], v[35:36], v[23:24]
	v_fma_f64 v[35:36], v[198:199], s[16:17], v[218:219]
	v_add_f64 v[23:24], v[35:36], v[23:24]
	v_fma_f64 v[35:36], v[210:211], s[12:13], v[226:227]
	;; [unrolled: 2-line block ×5, first 2 shown]
	v_add_f64 v[23:24], v[35:36], v[23:24]
	v_fma_f64 v[35:36], v[228:229], s[18:19], -v[85:86]
	v_add_f64 v[21:22], v[35:36], v[21:22]
	v_fma_f64 v[35:36], v[172:173], s[12:13], -v[104:105]
	v_add_f64 v[35:36], v[35:36], v[59:60]
	v_add_f64 v[35:36], v[49:50], v[35:36]
	v_fma_f64 v[49:50], v[182:183], s[6:7], -v[166:167]
	v_add_f64 v[35:36], v[49:50], v[35:36]
	v_fma_f64 v[49:50], v[188:189], s[16:17], -v[170:171]
	;; [unrolled: 2-line block ×4, first 2 shown]
	v_add_f64 v[35:36], v[49:50], v[35:36]
	s_clause 0x3
	buffer_load_dword v49, off, s[64:67], 0 offset:884
	buffer_load_dword v50, off, s[64:67], 0 offset:888
	;; [unrolled: 1-line block ×4, first 2 shown]
	s_waitcnt vmcnt(2)
	v_fma_f64 v[49:50], v[180:181], s[12:13], v[49:50]
	s_waitcnt vmcnt(0)
	v_fma_f64 v[51:52], v[190:191], s[22:23], v[51:52]
	v_add_f64 v[49:50], v[49:50], v[75:76]
	v_add_f64 v[49:50], v[51:52], v[49:50]
	v_fma_f64 v[51:52], v[198:199], s[6:7], v[168:169]
	v_add_f64 v[49:50], v[51:52], v[49:50]
	v_fma_f64 v[51:52], v[210:211], s[16:17], v[174:175]
	;; [unrolled: 2-line block ×5, first 2 shown]
	v_add_f64 v[49:50], v[51:52], v[49:50]
	v_fma_f64 v[51:52], v[228:229], s[24:25], -v[200:201]
	v_add_f64 v[35:36], v[51:52], v[35:36]
	s_clause 0x3
	buffer_load_dword v51, off, s[64:67], 0 offset:788
	buffer_load_dword v52, off, s[64:67], 0 offset:792
	;; [unrolled: 1-line block ×4, first 2 shown]
	s_waitcnt vmcnt(2)
	v_fma_f64 v[51:52], v[172:173], s[18:19], -v[51:52]
	s_waitcnt vmcnt(0)
	v_fma_f64 v[57:58], v[176:177], s[12:13], -v[57:58]
	v_add_f64 v[51:52], v[51:52], v[61:62]
	v_add_f64 v[51:52], v[57:58], v[51:52]
	s_clause 0x1
	buffer_load_dword v57, off, s[64:67], 0 offset:812
	buffer_load_dword v58, off, s[64:67], 0 offset:816
	s_waitcnt vmcnt(0)
	v_fma_f64 v[57:58], v[182:183], s[22:23], -v[57:58]
	v_add_f64 v[51:52], v[57:58], v[51:52]
	s_clause 0x1
	buffer_load_dword v57, off, s[64:67], 0 offset:828
	buffer_load_dword v58, off, s[64:67], 0 offset:832
	s_waitcnt vmcnt(0)
	v_fma_f64 v[57:58], v[188:189], s[24:25], -v[57:58]
	;; [unrolled: 6-line block ×4, first 2 shown]
	v_add_f64 v[51:52], v[57:58], v[51:52]
	s_clause 0x3
	buffer_load_dword v57, off, s[64:67], 0 offset:740
	buffer_load_dword v58, off, s[64:67], 0 offset:744
	buffer_load_dword v59, off, s[64:67], 0 offset:748
	buffer_load_dword v60, off, s[64:67], 0 offset:752
	s_waitcnt vmcnt(2)
	v_fma_f64 v[57:58], v[180:181], s[18:19], v[57:58]
	s_waitcnt vmcnt(0)
	v_fma_f64 v[59:60], v[190:191], s[12:13], v[59:60]
	v_add_f64 v[57:58], v[57:58], v[77:78]
	v_add_f64 v[57:58], v[59:60], v[57:58]
	s_clause 0x1
	buffer_load_dword v59, off, s[64:67], 0 offset:764
	buffer_load_dword v60, off, s[64:67], 0 offset:768
	s_waitcnt vmcnt(0)
	v_fma_f64 v[59:60], v[198:199], s[22:23], v[59:60]
	v_add_f64 v[57:58], v[59:60], v[57:58]
	s_clause 0x1
	buffer_load_dword v59, off, s[64:67], 0 offset:772
	buffer_load_dword v60, off, s[64:67], 0 offset:776
	s_waitcnt vmcnt(0)
	v_fma_f64 v[59:60], v[210:211], s[24:25], v[59:60]
	;; [unrolled: 6-line block ×5, first 2 shown]
	v_add_f64 v[57:58], v[59:60], v[57:58]
	s_clause 0x1
	buffer_load_dword v59, off, s[64:67], 0 offset:844
	buffer_load_dword v60, off, s[64:67], 0 offset:848
	s_waitcnt vmcnt(0)
	v_fma_f64 v[59:60], v[228:229], s[14:15], -v[59:60]
	v_add_f64 v[51:52], v[59:60], v[51:52]
	s_clause 0x5
	buffer_load_dword v59, off, s[64:67], 0 offset:444
	buffer_load_dword v60, off, s[64:67], 0 offset:448
	;; [unrolled: 1-line block ×6, first 2 shown]
	s_waitcnt vmcnt(4)
	v_add_f64 v[59:60], v[89:90], v[59:60]
	s_waitcnt vmcnt(2)
	v_add_f64 v[61:62], v[93:94], v[61:62]
	s_waitcnt vmcnt(0)
	v_fma_f64 v[69:70], v[172:173], s[20:21], -v[69:70]
	v_add_f64 v[63:64], v[69:70], v[63:64]
	s_clause 0x1
	buffer_load_dword v69, off, s[64:67], 0 offset:476
	buffer_load_dword v70, off, s[64:67], 0 offset:480
	s_waitcnt vmcnt(0)
	v_add_f64 v[59:60], v[59:60], v[69:70]
	s_clause 0x1
	buffer_load_dword v69, off, s[64:67], 0 offset:460
	buffer_load_dword v70, off, s[64:67], 0 offset:464
	s_waitcnt vmcnt(0)
	v_add_f64 v[61:62], v[61:62], v[69:70]
	s_clause 0x1
	buffer_load_dword v69, off, s[64:67], 0 offset:692
	buffer_load_dword v70, off, s[64:67], 0 offset:696
	s_waitcnt vmcnt(0)
	v_fma_f64 v[69:70], v[176:177], s[18:19], -v[69:70]
	v_add_f64 v[63:64], v[69:70], v[63:64]
	s_clause 0x1
	buffer_load_dword v69, off, s[64:67], 0 offset:492
	buffer_load_dword v70, off, s[64:67], 0 offset:496
	s_waitcnt vmcnt(0)
	v_add_f64 v[59:60], v[59:60], v[69:70]
	s_clause 0x1
	buffer_load_dword v69, off, s[64:67], 0 offset:484
	buffer_load_dword v70, off, s[64:67], 0 offset:488
	s_waitcnt vmcnt(0)
	v_add_f64 v[61:62], v[61:62], v[69:70]
	s_clause 0x1
	buffer_load_dword v69, off, s[64:67], 0 offset:700
	buffer_load_dword v70, off, s[64:67], 0 offset:704
	;; [unrolled: 16-line block ×5, first 2 shown]
	buffer_load_dword v71, off, s[64:67], 0 offset:596
	buffer_load_dword v72, off, s[64:67], 0 offset:600
	s_waitcnt vmcnt(2)
	v_fma_f64 v[69:70], v[180:181], s[20:21], v[69:70]
	s_waitcnt vmcnt(0)
	v_add_f64 v[59:60], v[59:60], v[71:72]
	s_clause 0x1
	buffer_load_dword v71, off, s[64:67], 0 offset:604
	buffer_load_dword v72, off, s[64:67], 0 offset:608
	v_add_f64 v[69:70], v[69:70], v[81:82]
	v_mul_f64 v[81:82], v[19:20], v[13:14]
	v_mul_f64 v[13:14], v[9:10], v[13:14]
	s_waitcnt vmcnt(0)
	v_add_f64 v[61:62], v[61:62], v[71:72]
	s_clause 0x1
	buffer_load_dword v71, off, s[64:67], 0 offset:652
	buffer_load_dword v72, off, s[64:67], 0 offset:656
	s_waitcnt vmcnt(0)
	v_fma_f64 v[71:72], v[190:191], s[18:19], v[71:72]
	v_add_f64 v[69:70], v[71:72], v[69:70]
	s_clause 0x1
	buffer_load_dword v71, off, s[64:67], 0 offset:580
	buffer_load_dword v72, off, s[64:67], 0 offset:584
	s_waitcnt vmcnt(0)
	v_add_f64 v[59:60], v[59:60], v[71:72]
	s_clause 0x1
	buffer_load_dword v71, off, s[64:67], 0 offset:588
	buffer_load_dword v72, off, s[64:67], 0 offset:592
	s_waitcnt vmcnt(0)
	v_add_f64 v[61:62], v[61:62], v[71:72]
	s_clause 0x1
	buffer_load_dword v71, off, s[64:67], 0 offset:660
	buffer_load_dword v72, off, s[64:67], 0 offset:664
	s_waitcnt vmcnt(0)
	v_fma_f64 v[71:72], v[198:199], s[12:13], v[71:72]
	v_add_f64 v[69:70], v[71:72], v[69:70]
	s_clause 0x1
	buffer_load_dword v71, off, s[64:67], 0 offset:540
	buffer_load_dword v72, off, s[64:67], 0 offset:544
	s_waitcnt vmcnt(0)
	v_add_f64 v[59:60], v[59:60], v[71:72]
	s_clause 0x1
	buffer_load_dword v71, off, s[64:67], 0 offset:516
	buffer_load_dword v72, off, s[64:67], 0 offset:520
	;; [unrolled: 16-line block ×3, first 2 shown]
	s_waitcnt vmcnt(0)
	v_add_f64 v[61:62], v[61:62], v[71:72]
	s_clause 0x5
	buffer_load_dword v71, off, s[64:67], 0 offset:292
	buffer_load_dword v72, off, s[64:67], 0 offset:296
	;; [unrolled: 1-line block ×6, first 2 shown]
	s_waitcnt vmcnt(4)
	v_fma_f64 v[71:72], v[180:181], s[24:25], v[71:72]
	s_waitcnt vmcnt(2)
	v_fma_f64 v[73:74], v[172:173], s[24:25], -v[73:74]
	s_waitcnt vmcnt(0)
	v_fma_f64 v[75:76], v[220:221], s[22:23], v[75:76]
	v_add_f64 v[71:72], v[71:72], v[83:84]
	v_add_f64 v[4:5], v[73:74], v[4:5]
	;; [unrolled: 1-line block ×3, first 2 shown]
	s_clause 0x1
	buffer_load_dword v75, off, s[64:67], 0 offset:428
	buffer_load_dword v76, off, s[64:67], 0 offset:432
	s_waitcnt vmcnt(0)
	v_add_f64 v[59:60], v[59:60], v[75:76]
	s_clause 0x1
	buffer_load_dword v75, off, s[64:67], 0 offset:420
	buffer_load_dword v76, off, s[64:67], 0 offset:424
	s_waitcnt vmcnt(0)
	v_add_f64 v[61:62], v[61:62], v[75:76]
	s_clause 0x5
	buffer_load_dword v75, off, s[64:67], 0 offset:284
	buffer_load_dword v76, off, s[64:67], 0 offset:288
	;; [unrolled: 1-line block ×6, first 2 shown]
	s_waitcnt vmcnt(4)
	v_fma_f64 v[75:76], v[176:177], s[16:17], -v[75:76]
	s_waitcnt vmcnt(2)
	v_fma_f64 v[77:78], v[190:191], s[16:17], v[77:78]
	s_waitcnt vmcnt(0)
	v_fma_f64 v[73:74], v[208:209], s[16:17], -v[73:74]
	v_add_f64 v[4:5], v[75:76], v[4:5]
	v_add_f64 v[71:72], v[77:78], v[71:72]
	;; [unrolled: 1-line block ×3, first 2 shown]
	s_clause 0x1
	buffer_load_dword v73, off, s[64:67], 0 offset:356
	buffer_load_dword v74, off, s[64:67], 0 offset:360
	s_waitcnt vmcnt(0)
	v_add_f64 v[59:60], v[59:60], v[73:74]
	s_clause 0x1
	buffer_load_dword v73, off, s[64:67], 0 offset:324
	buffer_load_dword v74, off, s[64:67], 0 offset:328
	s_waitcnt vmcnt(0)
	v_add_f64 v[61:62], v[61:62], v[73:74]
	s_clause 0x5
	buffer_load_dword v73, off, s[64:67], 0 offset:300
	buffer_load_dword v74, off, s[64:67], 0 offset:304
	;; [unrolled: 1-line block ×6, first 2 shown]
	s_waitcnt vmcnt(4)
	v_fma_f64 v[73:74], v[182:183], s[20:21], -v[73:74]
	s_waitcnt vmcnt(2)
	v_fma_f64 v[79:80], v[198:199], s[20:21], v[79:80]
	s_waitcnt vmcnt(0)
	v_fma_f64 v[75:76], v[224:225], s[16:17], v[75:76]
	v_add_f64 v[4:5], v[73:74], v[4:5]
	v_add_f64 v[71:72], v[79:80], v[71:72]
	;; [unrolled: 1-line block ×3, first 2 shown]
	s_clause 0x1
	buffer_load_dword v75, off, s[64:67], 0 offset:268
	buffer_load_dword v76, off, s[64:67], 0 offset:272
	s_waitcnt vmcnt(0)
	v_add_f64 v[59:60], v[59:60], v[75:76]
	s_clause 0x1
	buffer_load_dword v75, off, s[64:67], 0 offset:260
	buffer_load_dword v76, off, s[64:67], 0 offset:264
	s_waitcnt vmcnt(0)
	v_add_f64 v[61:62], v[61:62], v[75:76]
	s_clause 0x5
	buffer_load_dword v75, off, s[64:67], 0 offset:308
	buffer_load_dword v76, off, s[64:67], 0 offset:312
	;; [unrolled: 1-line block ×6, first 2 shown]
	s_waitcnt vmcnt(4)
	v_fma_f64 v[75:76], v[188:189], s[22:23], -v[75:76]
	s_waitcnt vmcnt(2)
	v_fma_f64 v[77:78], v[210:211], s[22:23], v[77:78]
	s_waitcnt vmcnt(0)
	v_fma_f64 v[73:74], v[214:215], s[6:7], v[73:74]
	v_add_f64 v[4:5], v[75:76], v[4:5]
	v_add_f64 v[71:72], v[77:78], v[71:72]
	;; [unrolled: 1-line block ×3, first 2 shown]
	s_clause 0x1
	buffer_load_dword v73, off, s[64:67], 0 offset:212
	buffer_load_dword v74, off, s[64:67], 0 offset:216
	v_mul_f64 v[87:88], v[69:70], v[37:38]
	s_waitcnt vmcnt(0)
	v_add_f64 v[59:60], v[59:60], v[73:74]
	s_clause 0x1
	buffer_load_dword v73, off, s[64:67], 0 offset:204
	buffer_load_dword v74, off, s[64:67], 0 offset:208
	s_waitcnt vmcnt(0)
	v_add_f64 v[61:62], v[61:62], v[73:74]
	s_clause 0x5
	buffer_load_dword v73, off, s[64:67], 0 offset:340
	buffer_load_dword v74, off, s[64:67], 0 offset:344
	;; [unrolled: 1-line block ×6, first 2 shown]
	s_waitcnt vmcnt(4)
	v_fma_f64 v[73:74], v[196:197], s[18:19], -v[73:74]
	s_waitcnt vmcnt(2)
	v_fma_f64 v[79:80], v[220:221], s[18:19], v[79:80]
	s_waitcnt vmcnt(0)
	v_fma_f64 v[75:76], v[228:229], s[6:7], -v[75:76]
	v_add_f64 v[5:6], v[73:74], v[4:5]
	v_add_f64 v[71:72], v[79:80], v[71:72]
	;; [unrolled: 1-line block ×3, first 2 shown]
	s_clause 0x1
	buffer_load_dword v75, off, s[64:67], 0 offset:180
	buffer_load_dword v76, off, s[64:67], 0 offset:184
	v_mul_f64 v[73:74], v[17:18], v[7:8]
	v_mul_f64 v[7:8], v[2:3], v[7:8]
	;; [unrolled: 1-line block ×3, first 2 shown]
	v_fma_f64 v[3:4], v[2:3], v[0:1], -v[73:74]
	v_fma_f64 v[1:2], v[17:18], v[0:1], v[7:8]
	v_fma_f64 v[7:8], v[9:10], v[11:12], -v[81:82]
	v_mul_f64 v[73:74], v[23:24], v[25:26]
	v_mul_f64 v[25:26], v[21:22], v[25:26]
	;; [unrolled: 1-line block ×4, first 2 shown]
	s_waitcnt vmcnt(0)
	v_add_f64 v[59:60], v[59:60], v[75:76]
	s_clause 0x1
	buffer_load_dword v75, off, s[64:67], 0 offset:164
	buffer_load_dword v76, off, s[64:67], 0 offset:168
	v_mul_f64 v[89:90], v[59:60], v[45:46]
	s_waitcnt vmcnt(0)
	v_add_f64 v[61:62], v[61:62], v[75:76]
	s_clause 0xb
	buffer_load_dword v75, off, s[64:67], 0 offset:372
	buffer_load_dword v76, off, s[64:67], 0 offset:376
	;; [unrolled: 1-line block ×12, first 2 shown]
	v_mul_f64 v[45:46], v[61:62], v[45:46]
	s_waitcnt vmcnt(10)
	v_fma_f64 v[75:76], v[208:209], s[14:15], -v[75:76]
	s_waitcnt vmcnt(8)
	v_fma_f64 v[77:78], v[224:225], s[14:15], v[77:78]
	s_waitcnt vmcnt(6)
	v_fma_f64 v[79:80], v[228:229], s[12:13], -v[79:80]
	s_waitcnt vmcnt(4)
	v_fma_f64 v[83:84], v[214:215], s[12:13], v[83:84]
	s_waitcnt vmcnt(2)
	v_mul_f64 v[85:86], v[93:94], v[186:187]
	s_waitcnt vmcnt(0)
	v_mul_f64 v[81:82], v[9:10], v[186:187]
	v_add_f64 v[75:76], v[75:76], v[5:6]
	v_add_f64 v[71:72], v[77:78], v[71:72]
	v_mov_b32_e32 v77, 0x227
	v_fma_f64 v[5:6], v[19:20], v[11:12], v[13:14]
	v_fma_f64 v[85:86], v[184:185], v[9:10], v[85:86]
	v_fma_f64 v[9:10], v[23:24], v[15:16], v[25:26]
	buffer_load_dword v26, off, s[64:67], 0 offset:120 ; 4-byte Folded Reload
	v_mul_u32_u24_sdwa v0, v113, v77 dst_sel:DWORD dst_unused:UNUSED_PAD src0_sel:WORD_0 src1_sel:DWORD
	v_mul_f64 v[77:78], v[57:58], v[31:32]
	v_mul_f64 v[31:32], v[51:52], v[31:32]
	v_fma_f64 v[11:12], v[21:22], v[15:16], -v[73:74]
	v_fma_f64 v[15:16], v[35:36], v[29:30], -v[17:18]
	v_lshrrev_b32_e32 v0, 16, v0
	v_fma_f64 v[13:14], v[49:50], v[29:30], v[27:28]
	v_fma_f64 v[21:22], v[69:70], v[39:40], v[37:38]
	v_fma_f64 v[27:28], v[61:62], v[47:48], -v[89:90]
	v_fma_f64 v[23:24], v[63:64], v[39:40], -v[87:88]
	v_mul_lo_u16 v0, 0x121, v0
	v_add_f64 v[73:74], v[79:80], v[75:76]
	v_add_f64 v[71:72], v[83:84], v[71:72]
	v_add_nc_u32_sdwa v83, v97, v0 dst_sel:DWORD dst_unused:UNUSED_PAD src0_sel:DWORD src1_sel:WORD_0
	v_mov_b32_e32 v0, v92
	v_mad_u64_u32 v[75:76], null, s0, v83, 0
	v_fma_f64 v[17:18], v[57:58], v[33:34], v[31:32]
	v_add_nc_u32_e32 v49, 17, v83
	v_fma_f64 v[19:20], v[51:52], v[33:34], -v[77:78]
	v_fma_f64 v[33:34], v[184:185], v[93:94], -v[81:82]
	v_add_nc_u32_e32 v57, 51, v83
	v_mov_b32_e32 v25, v76
	v_mad_u64_u32 v[35:36], null, s0, v49, 0
	v_mul_f64 v[37:38], v[73:74], v[85:86]
	s_waitcnt vmcnt(0)
	v_mad_u64_u32 v[29:30], null, s3, v26, v[0:1]
	v_mad_u64_u32 v[30:31], null, s1, v83, v[25:26]
	v_fma_f64 v[25:26], v[59:60], v[47:48], v[45:46]
	v_add_nc_u32_e32 v48, 34, v83
	v_mul_f64 v[31:32], v[71:72], v[85:86]
	s_lshl_b64 s[2:3], s[10:11], 4
	v_mov_b32_e32 v92, v29
	s_add_u32 s2, s4, s2
	v_mov_b32_e32 v76, v30
	v_mad_u64_u32 v[39:40], null, s0, v48, 0
	v_lshlrev_b64 v[29:30], 4, v[91:92]
	v_mov_b32_e32 v0, v36
	s_addc_u32 s3, s5, s3
	v_add_co_u32 v51, vcc_lo, s2, v29
	v_add_co_ci_u32_e32 v52, vcc_lo, s3, v30, vcc_lo
	v_lshlrev_b64 v[29:30], 4, v[75:76]
	v_mad_u64_u32 v[45:46], null, s1, v49, v[0:1]
	v_mov_b32_e32 v0, v40
	v_fma_f64 v[31:32], v[73:74], v[33:34], -v[31:32]
	v_add_co_u32 v46, vcc_lo, v51, v29
	v_mad_u64_u32 v[48:49], null, s1, v48, v[0:1]
	v_add_co_ci_u32_e32 v47, vcc_lo, v52, v30, vcc_lo
	v_mad_u64_u32 v[49:50], null, s0, v57, 0
	v_fma_f64 v[29:30], v[71:72], v[33:34], v[37:38]
	v_add_nc_u32_e32 v38, 0x44, v83
	global_store_dwordx4 v[46:47], v[25:28], off
	v_mov_b32_e32 v36, v45
	v_add_nc_u32_e32 v45, 0x55, v83
	v_mov_b32_e32 v40, v48
	v_mad_u64_u32 v[27:28], null, s0, v38, 0
	v_mov_b32_e32 v0, v50
	v_lshlrev_b64 v[25:26], 4, v[35:36]
	v_lshlrev_b64 v[33:34], 4, v[39:40]
	v_add_nc_u32_e32 v46, 0x66, v83
	v_mad_u64_u32 v[35:36], null, s1, v57, v[0:1]
	v_mov_b32_e32 v0, v28
	v_mad_u64_u32 v[36:37], null, s0, v45, 0
	v_add_co_u32 v25, vcc_lo, v51, v25
	v_mad_u64_u32 v[38:39], null, s1, v38, v[0:1]
	v_add_co_ci_u32_e32 v26, vcc_lo, v52, v26, vcc_lo
	v_add_co_u32 v33, vcc_lo, v51, v33
	v_mov_b32_e32 v50, v35
	v_mov_b32_e32 v0, v37
	v_add_co_ci_u32_e32 v34, vcc_lo, v52, v34, vcc_lo
	v_mad_u64_u32 v[39:40], null, s0, v46, 0
	v_mov_b32_e32 v28, v38
	global_store_dwordx4 v[25:26], v[29:32], off
	global_store_dwordx4 v[33:34], v[21:24], off
	v_lshlrev_b64 v[21:22], 4, v[49:50]
	v_mad_u64_u32 v[23:24], null, s1, v45, v[0:1]
	v_lshlrev_b64 v[24:25], 4, v[27:28]
	v_mov_b32_e32 v0, v40
	v_add_co_u32 v21, vcc_lo, v51, v21
	v_add_co_ci_u32_e32 v22, vcc_lo, v52, v22, vcc_lo
	v_mov_b32_e32 v37, v23
	v_add_co_u32 v23, vcc_lo, v51, v24
	v_mad_u64_u32 v[26:27], null, s1, v46, v[0:1]
	v_add_nc_u32_e32 v27, 0x77, v83
	v_add_co_ci_u32_e32 v24, vcc_lo, v52, v25, vcc_lo
	global_store_dwordx4 v[21:22], v[17:20], off
	v_lshlrev_b64 v[17:18], 4, v[36:37]
	v_mad_u64_u32 v[19:20], null, s0, v27, 0
	global_store_dwordx4 v[23:24], v[13:16], off
	v_add_nc_u32_e32 v23, 0x88, v83
	v_mov_b32_e32 v40, v26
	v_add_co_u32 v13, vcc_lo, v51, v17
	v_add_co_ci_u32_e32 v14, vcc_lo, v52, v18, vcc_lo
	v_mad_u64_u32 v[17:18], null, s0, v23, 0
	v_mov_b32_e32 v0, v20
	v_add_nc_u32_e32 v26, 0x99, v83
	v_lshlrev_b64 v[15:16], 4, v[39:40]
	global_store_dwordx4 v[13:14], v[9:12], off
	v_add_nc_u32_e32 v13, 0xbb, v83
	v_mad_u64_u32 v[20:21], null, s1, v27, v[0:1]
	v_mov_b32_e32 v0, v18
	v_mad_u64_u32 v[21:22], null, s0, v26, 0
	v_add_nc_u32_e32 v27, 0xaa, v83
	v_add_co_u32 v15, vcc_lo, v51, v15
	v_mad_u64_u32 v[23:24], null, s1, v23, v[0:1]
	v_mad_u64_u32 v[24:25], null, s0, v27, 0
	v_add_co_ci_u32_e32 v16, vcc_lo, v52, v16, vcc_lo
	v_mov_b32_e32 v0, v22
	v_mov_b32_e32 v18, v23
	global_store_dwordx4 v[15:16], v[5:8], off
	v_lshlrev_b64 v[5:6], 4, v[19:20]
	v_mad_u64_u32 v[7:8], null, s1, v26, v[0:1]
	v_mov_b32_e32 v0, v25
	v_lshlrev_b64 v[8:9], 4, v[17:18]
	v_add_nc_u32_e32 v15, 0xff, v83
	v_add_co_u32 v5, vcc_lo, v51, v5
	v_mad_u64_u32 v[10:11], null, s1, v27, v[0:1]
	v_mad_u64_u32 v[11:12], null, s0, v13, 0
	v_add_co_ci_u32_e32 v6, vcc_lo, v52, v6, vcc_lo
	v_mov_b32_e32 v22, v7
	v_add_co_u32 v7, vcc_lo, v51, v8
	v_mov_b32_e32 v25, v10
	global_store_dwordx4 v[5:6], v[1:4], off
	v_lshlrev_b64 v[1:2], 4, v[21:22]
	v_mov_b32_e32 v0, v12
	v_add_co_ci_u32_e32 v8, vcc_lo, v52, v9, vcc_lo
	v_lshlrev_b64 v[3:4], 4, v[24:25]
	v_add_nc_u32_e32 v10, 0xdd, v83
	v_mad_u64_u32 v[5:6], null, s1, v13, v[0:1]
	v_add_co_u32 v0, vcc_lo, v51, v1
	v_add_co_ci_u32_e32 v1, vcc_lo, v52, v2, vcc_lo
	v_add_co_u32 v2, vcc_lo, v51, v3
	v_add_co_ci_u32_e32 v3, vcc_lo, v52, v4, vcc_lo
	global_store_dwordx4 v[7:8], v[53:56], off
	global_store_dwordx4 v[0:1], v[65:68], off
	v_mov_b32_e32 v12, v5
	global_store_dwordx4 v[2:3], v[41:44], off
	s_clause 0x3
	buffer_load_dword v17, off, s[64:67], 0 offset:96
	buffer_load_dword v18, off, s[64:67], 0 offset:100
	;; [unrolled: 1-line block ×4, first 2 shown]
	v_add_nc_u32_e32 v8, 0xcc, v83
	v_mad_u64_u32 v[2:3], null, s0, v10, 0
	v_lshlrev_b64 v[0:1], 4, v[11:12]
	v_add_nc_u32_e32 v12, 0xee, v83
	v_mad_u64_u32 v[4:5], null, s0, v8, 0
	v_add_nc_u32_e32 v16, 0x110, v83
	v_mad_u64_u32 v[6:7], null, s0, v12, 0
	v_add_co_u32 v0, vcc_lo, v51, v0
	v_add_co_ci_u32_e32 v1, vcc_lo, v52, v1, vcc_lo
	v_mad_u64_u32 v[8:9], null, s1, v8, v[5:6]
	v_mad_u64_u32 v[9:10], null, s1, v10, v[3:4]
	v_mov_b32_e32 v3, v7
	v_mad_u64_u32 v[10:11], null, s0, v15, 0
	v_mov_b32_e32 v5, v8
	v_mad_u64_u32 v[12:13], null, s1, v12, v[3:4]
	v_mad_u64_u32 v[13:14], null, s0, v16, 0
	v_mov_b32_e32 v3, v9
	v_lshlrev_b64 v[4:5], 4, v[4:5]
	v_mov_b32_e32 v7, v12
	v_lshlrev_b64 v[2:3], 4, v[2:3]
	v_add_co_u32 v4, vcc_lo, v51, v4
	v_add_co_ci_u32_e32 v5, vcc_lo, v52, v5, vcc_lo
	v_lshlrev_b64 v[6:7], 4, v[6:7]
	s_waitcnt vmcnt(0)
	global_store_dwordx4 v[0:1], v[17:20], off
	v_mov_b32_e32 v0, v11
	v_mad_u64_u32 v[0:1], null, s1, v15, v[0:1]
	v_mov_b32_e32 v1, v14
	v_mad_u64_u32 v[8:9], null, s1, v16, v[1:2]
	v_mov_b32_e32 v11, v0
	v_add_co_u32 v0, vcc_lo, v51, v2
	v_add_co_ci_u32_e32 v1, vcc_lo, v52, v3, vcc_lo
	v_lshlrev_b64 v[2:3], 4, v[10:11]
	v_mov_b32_e32 v14, v8
	v_add_co_u32 v6, vcc_lo, v51, v6
	v_add_co_ci_u32_e32 v7, vcc_lo, v52, v7, vcc_lo
	v_lshlrev_b64 v[8:9], 4, v[13:14]
	s_clause 0x3
	buffer_load_dword v10, off, s[64:67], 0 offset:64
	buffer_load_dword v11, off, s[64:67], 0 offset:68
	;; [unrolled: 1-line block ×4, first 2 shown]
	v_add_co_u32 v2, vcc_lo, v51, v2
	v_add_co_ci_u32_e32 v3, vcc_lo, v52, v3, vcc_lo
	v_add_co_u32 v8, vcc_lo, v51, v8
	v_add_co_ci_u32_e32 v9, vcc_lo, v52, v9, vcc_lo
	s_waitcnt vmcnt(0)
	global_store_dwordx4 v[4:5], v[10:13], off
	s_clause 0x3
	buffer_load_dword v10, off, s[64:67], 0 offset:48
	buffer_load_dword v11, off, s[64:67], 0 offset:52
	buffer_load_dword v12, off, s[64:67], 0 offset:56
	buffer_load_dword v13, off, s[64:67], 0 offset:60
	s_waitcnt vmcnt(0)
	global_store_dwordx4 v[0:1], v[10:13], off
	s_clause 0x3
	buffer_load_dword v10, off, s[64:67], 0 offset:32
	buffer_load_dword v11, off, s[64:67], 0 offset:36
	buffer_load_dword v12, off, s[64:67], 0 offset:40
	buffer_load_dword v13, off, s[64:67], 0 offset:44
	;; [unrolled: 7-line block ×3, first 2 shown]
	s_waitcnt vmcnt(0)
	global_store_dwordx4 v[2:3], v[4:7], off
	s_clause 0x3
	buffer_load_dword v0, off, s[64:67], 0
	buffer_load_dword v1, off, s[64:67], 0 offset:4
	buffer_load_dword v2, off, s[64:67], 0 offset:8
	;; [unrolled: 1-line block ×3, first 2 shown]
	s_waitcnt vmcnt(0)
	global_store_dwordx4 v[8:9], v[0:3], off
.LBB0_14:
	s_endpgm
	.section	.rodata,"a",@progbits
	.p2align	6, 0x0
	.amdhsa_kernel fft_rtc_back_len289_factors_17_17_wgs_119_tpt_17_dp_ip_CI_sbcc_twdbase8_3step_dirReg_intrinsicRead
		.amdhsa_group_segment_fixed_size 0
		.amdhsa_private_segment_fixed_size 904
		.amdhsa_kernarg_size 96
		.amdhsa_user_sgpr_count 6
		.amdhsa_user_sgpr_private_segment_buffer 1
		.amdhsa_user_sgpr_dispatch_ptr 0
		.amdhsa_user_sgpr_queue_ptr 0
		.amdhsa_user_sgpr_kernarg_segment_ptr 1
		.amdhsa_user_sgpr_dispatch_id 0
		.amdhsa_user_sgpr_flat_scratch_init 0
		.amdhsa_user_sgpr_private_segment_size 0
		.amdhsa_wavefront_size32 1
		.amdhsa_uses_dynamic_stack 0
		.amdhsa_system_sgpr_private_segment_wavefront_offset 1
		.amdhsa_system_sgpr_workgroup_id_x 1
		.amdhsa_system_sgpr_workgroup_id_y 0
		.amdhsa_system_sgpr_workgroup_id_z 0
		.amdhsa_system_sgpr_workgroup_info 0
		.amdhsa_system_vgpr_workitem_id 0
		.amdhsa_next_free_vgpr 256
		.amdhsa_next_free_sgpr 68
		.amdhsa_reserve_vcc 1
		.amdhsa_reserve_flat_scratch 0
		.amdhsa_float_round_mode_32 0
		.amdhsa_float_round_mode_16_64 0
		.amdhsa_float_denorm_mode_32 3
		.amdhsa_float_denorm_mode_16_64 3
		.amdhsa_dx10_clamp 1
		.amdhsa_ieee_mode 1
		.amdhsa_fp16_overflow 0
		.amdhsa_workgroup_processor_mode 1
		.amdhsa_memory_ordered 1
		.amdhsa_forward_progress 0
		.amdhsa_shared_vgpr_count 0
		.amdhsa_exception_fp_ieee_invalid_op 0
		.amdhsa_exception_fp_denorm_src 0
		.amdhsa_exception_fp_ieee_div_zero 0
		.amdhsa_exception_fp_ieee_overflow 0
		.amdhsa_exception_fp_ieee_underflow 0
		.amdhsa_exception_fp_ieee_inexact 0
		.amdhsa_exception_int_div_zero 0
	.end_amdhsa_kernel
	.text
.Lfunc_end0:
	.size	fft_rtc_back_len289_factors_17_17_wgs_119_tpt_17_dp_ip_CI_sbcc_twdbase8_3step_dirReg_intrinsicRead, .Lfunc_end0-fft_rtc_back_len289_factors_17_17_wgs_119_tpt_17_dp_ip_CI_sbcc_twdbase8_3step_dirReg_intrinsicRead
                                        ; -- End function
	.section	.AMDGPU.csdata,"",@progbits
; Kernel info:
; codeLenInByte = 23680
; NumSgprs: 70
; NumVgprs: 256
; ScratchSize: 904
; MemoryBound: 0
; FloatMode: 240
; IeeeMode: 1
; LDSByteSize: 0 bytes/workgroup (compile time only)
; SGPRBlocks: 8
; VGPRBlocks: 31
; NumSGPRsForWavesPerEU: 70
; NumVGPRsForWavesPerEU: 256
; Occupancy: 4
; WaveLimiterHint : 1
; COMPUTE_PGM_RSRC2:SCRATCH_EN: 1
; COMPUTE_PGM_RSRC2:USER_SGPR: 6
; COMPUTE_PGM_RSRC2:TRAP_HANDLER: 0
; COMPUTE_PGM_RSRC2:TGID_X_EN: 1
; COMPUTE_PGM_RSRC2:TGID_Y_EN: 0
; COMPUTE_PGM_RSRC2:TGID_Z_EN: 0
; COMPUTE_PGM_RSRC2:TIDIG_COMP_CNT: 0
	.text
	.p2alignl 6, 3214868480
	.fill 48, 4, 3214868480
	.type	__hip_cuid_67eea6876f874dd6,@object ; @__hip_cuid_67eea6876f874dd6
	.section	.bss,"aw",@nobits
	.globl	__hip_cuid_67eea6876f874dd6
__hip_cuid_67eea6876f874dd6:
	.byte	0                               ; 0x0
	.size	__hip_cuid_67eea6876f874dd6, 1

	.ident	"AMD clang version 19.0.0git (https://github.com/RadeonOpenCompute/llvm-project roc-6.4.0 25133 c7fe45cf4b819c5991fe208aaa96edf142730f1d)"
	.section	".note.GNU-stack","",@progbits
	.addrsig
	.addrsig_sym __hip_cuid_67eea6876f874dd6
	.amdgpu_metadata
---
amdhsa.kernels:
  - .args:
      - .actual_access:  read_only
        .address_space:  global
        .offset:         0
        .size:           8
        .value_kind:     global_buffer
      - .address_space:  global
        .offset:         8
        .size:           8
        .value_kind:     global_buffer
      - .offset:         16
        .size:           8
        .value_kind:     by_value
      - .actual_access:  read_only
        .address_space:  global
        .offset:         24
        .size:           8
        .value_kind:     global_buffer
      - .actual_access:  read_only
        .address_space:  global
        .offset:         32
        .size:           8
        .value_kind:     global_buffer
      - .offset:         40
        .size:           8
        .value_kind:     by_value
      - .actual_access:  read_only
        .address_space:  global
        .offset:         48
        .size:           8
        .value_kind:     global_buffer
      - .actual_access:  read_only
        .address_space:  global
        .offset:         56
        .size:           8
        .value_kind:     global_buffer
      - .offset:         64
        .size:           4
        .value_kind:     by_value
      - .actual_access:  read_only
        .address_space:  global
        .offset:         72
        .size:           8
        .value_kind:     global_buffer
      - .actual_access:  read_only
        .address_space:  global
        .offset:         80
        .size:           8
        .value_kind:     global_buffer
      - .address_space:  global
        .offset:         88
        .size:           8
        .value_kind:     global_buffer
    .group_segment_fixed_size: 0
    .kernarg_segment_align: 8
    .kernarg_segment_size: 96
    .language:       OpenCL C
    .language_version:
      - 2
      - 0
    .max_flat_workgroup_size: 119
    .name:           fft_rtc_back_len289_factors_17_17_wgs_119_tpt_17_dp_ip_CI_sbcc_twdbase8_3step_dirReg_intrinsicRead
    .private_segment_fixed_size: 904
    .sgpr_count:     70
    .sgpr_spill_count: 0
    .symbol:         fft_rtc_back_len289_factors_17_17_wgs_119_tpt_17_dp_ip_CI_sbcc_twdbase8_3step_dirReg_intrinsicRead.kd
    .uniform_work_group_size: 1
    .uses_dynamic_stack: false
    .vgpr_count:     256
    .vgpr_spill_count: 225
    .wavefront_size: 32
    .workgroup_processor_mode: 1
amdhsa.target:   amdgcn-amd-amdhsa--gfx1030
amdhsa.version:
  - 1
  - 2
...

	.end_amdgpu_metadata
